;; amdgpu-corpus repo=triton-lang/triton kind=triton arch=gfx950 opt=O3 lang=triton
	.amdgcn_target "amdgcn-amd-amdhsa--gfx950"
	.amdhsa_code_object_version 5
	.text
	.globl	_attn_bwd                       ; -- Begin function _attn_bwd
	.p2align	8
	.type	_attn_bwd,@function
_attn_bwd:                              ; @_attn_bwd
.Lfunc_begin0:
	.cfi_sections .debug_frame
	.cfi_startproc
; %bb.170:
	.file	1 "/root/src/amdgpu-assembly/repos/triton-lang__triton-aot" "attention_bwd.py"
	.loc	1 126 0 prologue_end            ; attention_bwd.py:126:0
	s_load_dwordx2 s[2:3], s[0:1], 0x0
	s_load_dwordx8 s[4:11], s[0:1], 0x8
	s_load_dwordx4 s[12:15], s[0:1], 0x28
	s_waitcnt lgkmcnt(0)
	s_branch .LBB0_0
	.loc	1 0 0 is_stmt 0                 ; :0:0
.Ltmp0:
	.p2align	8
; %bb.171:
.LBB0_0:
	s_load_dwordx4 s[28:31], s[0:1], 0x58
.Ltmp1:
	.loc	1 144 55 is_stmt 1              ; attention_bwd.py:144:55
	s_abs_i32 s19, s17
	s_load_dwordx8 s[20:27], s[0:1], 0x38
.Ltmp2:
	.loc	1 114 19                        ; attention_bwd.py:114:19 @[ attention_bwd.py:253:40 ]
	v_readfirstlane_b32 s38, v0
.Ltmp3:
	.loc	1 259 22                        ; attention_bwd.py:259:22
	s_and_b32 s85, s38, 0x1c0
	.loc	1 144 55                        ; attention_bwd.py:144:55
	s_waitcnt lgkmcnt(0)
	s_abs_i32 s9, s30
	v_cvt_f32_u32_e32 v1, s9
	s_sub_i32 s33, 0, s9
	.loc	1 143 22                        ; attention_bwd.py:143:22
	s_mul_i32 s0, s31, s17
	.loc	1 144 55                        ; attention_bwd.py:144:55
	s_xor_b32 s18, s17, s30
	v_rcp_iflag_f32_e32 v1, v1
	.loc	1 143 32                        ; attention_bwd.py:143:32
	s_ashr_i32 s1, s0, 31
	.loc	1 144 55                        ; attention_bwd.py:144:55
	s_ashr_i32 s18, s18, 31
	.loc	1 165 36                        ; attention_bwd.py:165:36
	v_and_b32_e32 v140, 63, v0
	.loc	1 144 55                        ; attention_bwd.py:144:55
	v_mul_f32_e32 v1, 0x4f7ffffe, v1
	v_cvt_u32_f32_e32 v1, v1
	.loc	1 165 36                        ; attention_bwd.py:165:36
	v_or_b32_e32 v86, s85, v140
	.loc	1 171 16                        ; attention_bwd.py:171:16
	v_lshlrev_b32_e32 v82, 1, v86
.Ltmp4:
	.loc	1 48 21                         ; attention_bwd.py:48:21 @[ attention_bwd.py:184:50 ]
	v_mov_b32_e32 v83, 0x2fe
.Ltmp5:
	.loc	1 144 55                        ; attention_bwd.py:144:55
	v_readfirstlane_b32 s34, v1
	s_mul_i32 s33, s33, s34
	s_mul_hi_u32 s33, s34, s33
	s_add_i32 s34, s34, s33
	s_mul_hi_u32 s33, s19, s34
	s_mul_i32 s34, s33, s9
	s_sub_i32 s19, s19, s34
	s_add_i32 s34, s33, 1
	s_sub_i32 s35, s19, s9
	s_cmp_ge_u32 s19, s9
	s_cselect_b32 s33, s34, s33
	s_cselect_b32 s19, s35, s19
	s_add_i32 s34, s33, 1
	s_cmp_ge_u32 s19, s9
	s_cselect_b32 s9, s34, s33
	s_xor_b32 s9, s9, s18
	s_sub_i32 s9, s9, s18
	.loc	1 144 30 is_stmt 0              ; attention_bwd.py:144:30
	s_mul_i32 s18, s9, s30
	s_sub_i32 s17, s17, s18
	.loc	1 144 23                        ; attention_bwd.py:144:23
	s_mul_i32 s17, s17, s27
	.loc	1 144 47                        ; attention_bwd.py:144:47
	s_mul_i32 s9, s9, s26
	.loc	1 144 35                        ; attention_bwd.py:144:35
	s_add_i32 s18, s9, s17
	.loc	1 144 62                        ; attention_bwd.py:144:62
	s_ashr_i32 s19, s18, 31
	.loc	1 148 9 is_stmt 1               ; attention_bwd.py:148:9
	s_lshl_b64 s[18:19], s[18:19], 1
	s_add_u32 s36, s2, s18
	s_addc_u32 s37, s3, s19
	.loc	1 149 9                         ; attention_bwd.py:149:9
	s_add_u32 s34, s4, s18
	s_addc_u32 s35, s5, s19
	.loc	1 150 9                         ; attention_bwd.py:150:9
	s_add_u32 s26, s6, s18
	s_addc_u32 s27, s7, s19
	.loc	1 151 10                        ; attention_bwd.py:151:10
	s_add_u32 s33, s10, s18
	s_addc_u32 s80, s11, s19
	.loc	1 155 9                         ; attention_bwd.py:155:9
	s_lshl_b64 s[0:1], s[0:1], 2
	s_add_u32 s22, s22, s0
	s_addc_u32 s23, s23, s1
	.loc	1 156 9                         ; attention_bwd.py:156:9
	s_add_u32 s24, s24, s0
	s_addc_u32 s25, s25, s1
	.loc	1 161 20                        ; attention_bwd.py:161:20
	s_lshl_b32 s9, s16, 6
	.loc	1 165 36                        ; attention_bwd.py:165:36
	s_bfe_u32 s94, s38, 0x20007
	.loc	1 165 23 is_stmt 0              ; attention_bwd.py:165:23
	s_or_b32 s84, s94, s9
	.loc	1 171 38 is_stmt 1              ; attention_bwd.py:171:38
	s_mul_i32 s0, s84, s28
	.loc	1 171 58 is_stmt 0              ; attention_bwd.py:171:58
	v_mov_b32_e32 v1, 0x7f
	.loc	1 165 36 is_stmt 1              ; attention_bwd.py:165:36
	s_or_b32 s93, s94, 4
	s_or_b32 s92, s94, 8
	s_or_b32 s91, s94, 12
	s_or_b32 s90, s94, 16
	s_or_b32 s89, s94, 20
	s_or_b32 s88, s94, 24
	s_or_b32 s87, s94, 28
	s_and_b32 s86, s38, 0xc0
	.loc	1 171 20                        ; attention_bwd.py:171:20
	s_ashr_i32 s1, s0, 31
	.loc	1 171 58 is_stmt 0              ; attention_bwd.py:171:58
	v_bitop3_b32 v1, s85, v1, v140 bitop3:0xc8
	.loc	1 165 36 is_stmt 1              ; attention_bwd.py:165:36
	s_and_b32 s81, s38, 0x100
	s_and_b32 s16, s38, 0x180
	s_lshr_b32 s95, s86, 2
	s_and_b32 s82, s38, 64
	.loc	1 165 23 is_stmt 0              ; attention_bwd.py:165:23
	s_or_b32 s42, s93, s9
	s_or_b32 s43, s92, s9
	;; [unrolled: 1-line block ×15, first 2 shown]
	.loc	1 171 20 is_stmt 1              ; attention_bwd.py:171:20
	s_lshl_b64 s[40:41], s[0:1], 1
	.loc	1 171 69 is_stmt 0              ; attention_bwd.py:171:69
	v_mul_lo_u32 v36, v1, s29
	.loc	1 171 20                        ; attention_bwd.py:171:20
	s_add_u32 s0, s34, s40
	.loc	1 171 51                        ; attention_bwd.py:171:51
	v_ashrrev_i32_e32 v37, 31, v36
	.loc	1 171 20                        ; attention_bwd.py:171:20
	s_addc_u32 s1, s35, s41
	.loc	1 171 51                        ; attention_bwd.py:171:51
	v_lshlrev_b64 v[80:81], 1, v[36:37]
	v_lshl_add_u64 v[2:3], s[0:1], 0, v[80:81]
	.loc	1 171 38                        ; attention_bwd.py:171:38
	s_mul_i32 s0, s42, s28
	.loc	1 171 20                        ; attention_bwd.py:171:20
	s_ashr_i32 s1, s0, 31
	s_lshl_b64 s[50:51], s[0:1], 1
	s_add_u32 s0, s34, s50
	s_addc_u32 s1, s35, s51
	.loc	1 171 51                        ; attention_bwd.py:171:51
	v_lshl_add_u64 v[4:5], s[0:1], 0, v[80:81]
	.loc	1 171 38                        ; attention_bwd.py:171:38
	s_mul_i32 s0, s43, s28
	.loc	1 171 20                        ; attention_bwd.py:171:20
	s_ashr_i32 s1, s0, 31
	s_lshl_b64 s[52:53], s[0:1], 1
	s_add_u32 s0, s34, s52
	s_addc_u32 s1, s35, s53
	.loc	1 171 51                        ; attention_bwd.py:171:51
	;; [unrolled: 9-line block ×15, first 2 shown]
	v_lshl_add_u64 v[32:33], s[0:1], 0, v[80:81]
	.loc	1 171 16                        ; attention_bwd.py:171:16
	global_load_ushort v3, v[2:3], off
	s_nop 0
	global_load_ushort v10, v[10:11], off
	s_nop 0
	global_load_ushort v11, v[18:19], off
	s_nop 0
	global_load_ushort v19, v[26:27], off
	s_nop 0
	global_load_ushort v4, v[4:5], off
	s_nop 0
	global_load_ushort v5, v[12:13], off
	s_nop 0
	global_load_ushort v12, v[20:21], off
	global_load_ushort v13, v[28:29], off
	s_nop 0
	global_load_ushort v6, v[6:7], off
	s_nop 0
	;; [unrolled: 2-line block ×3, first 2 shown]
	global_load_ushort v14, v[22:23], off
	global_load_ushort v15, v[30:31], off
	s_nop 0
	global_load_ushort v16, v[16:17], off
	s_nop 0
	;; [unrolled: 2-line block ×3, first 2 shown]
	global_load_ushort v9, v[32:33], off
	global_load_ushort v17, v[24:25], off
	s_lshr_b32 s96, s16, 3
	.loc	1 171 58                        ; attention_bwd.py:171:58
	s_lshr_b32 s83, s86, 1
	.loc	1 172 20 is_stmt 1              ; attention_bwd.py:172:20
	s_add_u32 s0, s26, s40
	s_addc_u32 s1, s27, s41
	.loc	1 172 51 is_stmt 0              ; attention_bwd.py:172:51
	v_lshl_add_u64 v[54:55], s[0:1], 0, v[80:81]
	.loc	1 172 20                        ; attention_bwd.py:172:20
	s_add_u32 s0, s26, s50
	s_addc_u32 s1, s27, s51
	.loc	1 172 51                        ; attention_bwd.py:172:51
	v_lshl_add_u64 v[52:53], s[0:1], 0, v[80:81]
	.loc	1 172 20                        ; attention_bwd.py:172:20
	s_add_u32 s0, s26, s52
	s_addc_u32 s1, s27, s53
	.loc	1 172 51                        ; attention_bwd.py:172:51
	;; [unrolled: 5-line block ×14, first 2 shown]
	v_lshl_add_u64 v[74:75], s[0:1], 0, v[80:81]
	.loc	1 172 20                        ; attention_bwd.py:172:20
	s_add_u32 s0, s26, s70
	s_addc_u32 s1, s27, s71
.Ltmp6:
	.loc	1 41 67 is_stmt 1               ; attention_bwd.py:41:67 @[ attention_bwd.py:184:50 ]
	s_lshl_b32 s72, s29, 5
.Ltmp7:
	.loc	1 172 51                        ; attention_bwd.py:172:51
	v_lshl_add_u64 v[72:73], s[0:1], 0, v[80:81]
.Ltmp8:
	.loc	1 42 19                         ; attention_bwd.py:42:19 @[ attention_bwd.py:184:50 ]
	s_add_u32 s0, s33, s40
	s_addc_u32 s1, s80, s41
	s_add_u32 s74, s33, s50
	s_addc_u32 s75, s80, s51
	s_add_u32 s76, s33, s52
	s_addc_u32 s77, s80, s53
	s_add_u32 s78, s33, s54
	.loc	1 42 50 is_stmt 0               ; attention_bwd.py:42:50 @[ attention_bwd.py:184:50 ]
	v_lshl_add_u64 v[88:89], s[0:1], 0, v[80:81]
	.loc	1 42 19                         ; attention_bwd.py:42:19 @[ attention_bwd.py:184:50 ]
	s_addc_u32 s79, s80, s55
	.loc	1 48 21 is_stmt 1               ; attention_bwd.py:48:21 @[ attention_bwd.py:184:50 ]
	s_bfe_i32 s0, s38, 0x10007
	.loc	1 41 56                         ; attention_bwd.py:41:56 @[ attention_bwd.py:184:50 ]
	v_lshrrev_b32_e32 v1, 4, v86
	.loc	1 48 21                         ; attention_bwd.py:48:21 @[ attention_bwd.py:184:50 ]
	s_and_b32 s97, s0, 0x110
	.loc	1 41 67                         ; attention_bwd.py:41:67 @[ attention_bwd.py:184:50 ]
	v_mul_lo_u32 v38, v1, s29
.Ltmp9:
	.loc	1 165 36                        ; attention_bwd.py:165:36
	v_and_b32_e32 v1, 15, v0
	.loc	1 171 58                        ; attention_bwd.py:171:58
	v_and_b32_e32 v122, 32, v0
.Ltmp10:
	.loc	1 48 21                         ; attention_bwd.py:48:21 @[ attention_bwd.py:184:50 ]
	v_bitop3_b32 v85, v82, s97, v83 bitop3:0x6c
.Ltmp11:
	.loc	1 171 16                        ; attention_bwd.py:171:16
	v_xor_b32_e32 v82, s96, v82
	v_lshlrev_b32_e32 v18, 4, v1
	v_lshrrev_b32_e32 v2, 1, v122
	v_xor_b32_e32 v187, v18, v2
	v_xor_b32_e32 v2, 64, v82
	v_add_u32_e32 v206, 0, v2
	v_xor_b32_e32 v2, 0x80, v82
	v_add_u32_e32 v235, 0, v2
	v_xor_b32_e32 v2, 0xc0, v82
	v_add_u32_e32 v176, 0, v82
	v_add_u32_e32 v226, 0, v2
	s_waitcnt vmcnt(15)
	ds_write_b16 v176, v3
	s_waitcnt vmcnt(14)
	ds_write_b16 v176, v10 offset:4096
	s_waitcnt vmcnt(13)
	ds_write_b16 v176, v11 offset:8192
	;; [unrolled: 2-line block ×12, first 2 shown]
	ds_write_b16 v226, v16 offset:7168
	s_waitcnt vmcnt(0)
	ds_write_b16 v226, v17 offset:11264
	ds_write_b16 v226, v9 offset:15360
	s_waitcnt lgkmcnt(0)
	s_barrier
	.loc	1 172 16                        ; attention_bwd.py:172:16
	global_load_ushort v29, v[54:55], off
	global_load_ushort v30, v[62:63], off
	;; [unrolled: 1-line block ×5, first 2 shown]
	s_nop 0
	global_load_ushort v52, v[60:61], off
	global_load_ushort v53, v[68:69], off
	;; [unrolled: 1-line block ×3, first 2 shown]
	s_nop 0
	global_load_ushort v50, v[50:51], off
	s_nop 0
	global_load_ushort v51, v[58:59], off
	global_load_ushort v55, v[66:67], off
	s_nop 0
	global_load_ushort v58, v[74:75], off
	s_nop 0
	;; [unrolled: 2-line block ×4, first 2 shown]
	global_load_ushort v35, v[72:73], off
	global_load_ushort v57, v[64:65], off
.Ltmp12:
	.loc	1 47 25                         ; attention_bwd.py:47:25 @[ attention_bwd.py:184:50 ]
	s_or_b32 s16, s84, 12
	.loc	1 72 28                         ; attention_bwd.py:72:28 @[ attention_bwd.py:184:50 ]
	s_lshl_b32 s0, s28, 4
	.loc	1 47 25                         ; attention_bwd.py:47:25 @[ attention_bwd.py:184:50 ]
	s_mul_i32 s16, s28, s16
	s_ashr_i32 s1, s0, 31
	s_ashr_i32 s17, s16, 31
	s_lshl_b64 s[16:17], s[16:17], 1
	s_lshl_b64 s[38:39], s[0:1], 1
	s_lshr_b32 s30, s81, 2
	s_add_u32 s73, s10, s38
	s_addc_u32 vcc_lo, s11, s39
	s_add_u32 s98, s73, s16
.Ltmp13:
	.loc	1 165 36                        ; attention_bwd.py:165:36
	v_and_b32_e32 v183, 31, v0
.Ltmp14:
	.loc	1 47 25                         ; attention_bwd.py:47:25 @[ attention_bwd.py:184:50 ]
	s_addc_u32 s99, vcc_lo, s17
	s_or_b32 s0, s84, 8
.Ltmp15:
	.loc	1 171 16                        ; attention_bwd.py:171:16
	v_lshlrev_b32_e32 v2, 8, v183
.Ltmp16:
	.loc	1 47 25                         ; attention_bwd.py:47:25 @[ attention_bwd.py:184:50 ]
	s_mul_i32 s0, s28, s0
.Ltmp17:
	.loc	1 171 16                        ; attention_bwd.py:171:16
	v_lshl_or_b32 v10, s82, 7, v2
.Ltmp18:
	.loc	1 47 25                         ; attention_bwd.py:47:25 @[ attention_bwd.py:184:50 ]
	s_ashr_i32 s1, s0, 31
.Ltmp19:
	.loc	1 171 16                        ; attention_bwd.py:171:16
	v_or_b32_e32 v25, v10, v187
.Ltmp20:
	.loc	1 47 25                         ; attention_bwd.py:47:25 @[ attention_bwd.py:184:50 ]
	s_lshl_b64 s[0:1], s[0:1], 1
.Ltmp21:
	.loc	1 171 16                        ; attention_bwd.py:171:16
	v_add_u32_e32 v228, 0, v25
.Ltmp22:
	.loc	1 47 25                         ; attention_bwd.py:47:25 @[ attention_bwd.py:184:50 ]
	s_add_u32 s16, s73, s0
.Ltmp23:
	.loc	1 171 16                        ; attention_bwd.py:171:16
	ds_read_b128 v[60:63], v228
.Ltmp24:
	.loc	1 47 25                         ; attention_bwd.py:47:25 @[ attention_bwd.py:184:50 ]
	s_addc_u32 s17, vcc_lo, s1
	v_lshl_add_u64 v[48:49], s[16:17], 0, v[80:81]
	s_movk_i32 s16, 0x60
.Ltmp25:
	.loc	1 171 16                        ; attention_bwd.py:171:16
	v_bitop3_b32 v11, v10, s16, v187 bitop3:0x36
	s_movk_i32 s16, 0xa0
	v_bitop3_b32 v26, v10, 32, v187 bitop3:0x36
	v_bitop3_b32 v12, v10, s16, v187 bitop3:0x36
	s_movk_i32 s16, 0xe0
	v_add_u32_e32 v240, 0, v26
	scratch_store_dword off, v2, off offset:352 ; 4-byte Folded Spill
	v_bitop3_b32 v13, v10, s16, v187 bitop3:0x36
	v_lshlrev_b32_e32 v2, 3, v1
	v_bfe_i32 v3, v0, 4, 1
	s_movk_i32 s16, 0x110
	.loc	1 171 58 is_stmt 0              ; attention_bwd.py:171:58
	v_lshrrev_b32_e32 v249, 2, v122
	v_bfe_i32 v20, v0, 3, 1
	.loc	1 171 16                        ; attention_bwd.py:171:16
	v_lshlrev_b32_e32 v22, 8, v1
	s_waitcnt lgkmcnt(0)
	scratch_store_dwordx4 off, v[60:63], off offset:128 ; 16-byte Folded Spill
	ds_read_b128 v[60:63], v240
	v_bitop3_b32 v19, v3, v2, s16 bitop3:0x6c
	v_and_or_b32 v21, v20, s16, v249
	s_movk_i32 s16, 0x80
	v_lshl_or_b32 v15, s86, 6, v22
	v_bitop3_b32 v23, v18, v0, 48 bitop3:0x78
	v_bitop3_b32 v14, v10, s16, v187 bitop3:0x36
	;; [unrolled: 1-line block ×4, first 2 shown]
	s_movk_i32 s16, 0xc0
	v_bitop3_b32 v17, v10, s16, v187 bitop3:0x36
	v_bitop3_b32 v10, v10, 64, v187 bitop3:0x36
	v_add_u32_e32 v225, 0, v10
	s_waitcnt lgkmcnt(0)
	scratch_store_dwordx4 off, v[60:63], off offset:80 ; 16-byte Folded Spill
	ds_read_b128 v[60:63], v225
	v_add_u32_e32 v227, 0, v11
	v_add_u32_e32 v243, 0, v17
	;; [unrolled: 1-line block ×4, first 2 shown]
	ds_read_b128 v[10:13], v243
	s_waitcnt lgkmcnt(1)
	scratch_store_dwordx4 off, v[60:63], off offset:96 ; 16-byte Folded Spill
	ds_read_b128 v[60:63], v227
	v_add_u32_e32 v241, 0, v14
.Ltmp26:
	.loc	1 41 67 is_stmt 1               ; attention_bwd.py:41:67 @[ attention_bwd.py:184:50 ]
	v_add_u32_e32 v40, s72, v38
.Ltmp27:
	.loc	1 171 16                        ; attention_bwd.py:171:16
	s_waitcnt lgkmcnt(1)
	scratch_store_dwordx4 off, v[10:13], off offset:64 ; 16-byte Folded Spill
	ds_read_b128 v[10:13], v244
	s_waitcnt lgkmcnt(1)
	scratch_store_dwordx4 off, v[60:63], off offset:112 ; 16-byte Folded Spill
	ds_read_b128 v[60:63], v241
.Ltmp28:
	.loc	1 38 23                         ; attention_bwd.py:38:23 @[ attention_bwd.py:184:50 ]
	v_or_b32_e32 v39, s9, v1
	.loc	1 41 67                         ; attention_bwd.py:41:67 @[ attention_bwd.py:184:50 ]
	v_add_u32_e32 v42, s72, v40
	.loc	1 41 36 is_stmt 0               ; attention_bwd.py:41:36 @[ attention_bwd.py:184:50 ]
	v_mul_lo_u32 v46, s28, v39
	.loc	1 41 67                         ; attention_bwd.py:41:67 @[ attention_bwd.py:184:50 ]
	v_add_u32_e32 v44, s72, v42
.Ltmp29:
	.loc	1 171 16 is_stmt 1              ; attention_bwd.py:171:16
	s_waitcnt lgkmcnt(0)
	scratch_store_dwordx4 off, v[60:63], off offset:216 ; 16-byte Folded Spill
	ds_read_b128 v[60:63], v242
.Ltmp30:
	.loc	1 41 18                         ; attention_bwd.py:41:18 @[ attention_bwd.py:184:50 ]
	v_ashrrev_i32_e32 v47, 31, v46
.Ltmp31:
	.loc	1 171 16                        ; attention_bwd.py:171:16
	v_and_b32_e32 v27, 48, v0
.Ltmp32:
	.loc	1 41 18                         ; attention_bwd.py:41:18 @[ attention_bwd.py:184:50 ]
	v_lshlrev_b64 v[198:199], 1, v[46:47]
	.loc	1 41 49 is_stmt 0               ; attention_bwd.py:41:49 @[ attention_bwd.py:184:50 ]
	v_ashrrev_i32_e32 v39, 31, v38
	v_ashrrev_i32_e32 v41, 31, v40
	;; [unrolled: 1-line block ×4, first 2 shown]
.Ltmp33:
	.loc	1 171 16 is_stmt 1              ; attention_bwd.py:171:16
	v_or_b32_e32 v28, v15, v23
.Ltmp34:
	.loc	1 38 36                         ; attention_bwd.py:38:36 @[ attention_bwd.py:184:50 ]
	v_lshrrev_b32_e32 v82, 2, v27
	.loc	1 41 49                         ; attention_bwd.py:41:49 @[ attention_bwd.py:184:50 ]
	v_lshlrev_b64 v[230:231], 1, v[38:39]
	v_lshlrev_b64 v[232:233], 1, v[40:41]
	;; [unrolled: 1-line block ×4, first 2 shown]
.Ltmp35:
	.loc	1 171 16                        ; attention_bwd.py:171:16
	v_bitop3_b32 v24, v15, s16, v23 bitop3:0x36
.Ltmp36:
	.loc	1 41 18                         ; attention_bwd.py:41:18 @[ attention_bwd.py:184:50 ]
	v_lshl_add_u64 v[2:3], s[36:37], 0, v[198:199]
	.loc	1 38 36                         ; attention_bwd.py:38:36 @[ attention_bwd.py:184:50 ]
	v_or_b32_e32 v79, 1, v82
.Ltmp37:
	.loc	1 171 16                        ; attention_bwd.py:171:16
	scratch_store_dwordx4 off, v[10:13], off offset:48 ; 16-byte Folded Spill
	v_add_u32_e32 v245, 0, v28
	v_add_u32_e32 v247, 0, v16
	v_bitop3_b32 v10, v15, 64, v23 bitop3:0x36
.Ltmp38:
	.loc	1 41 49                         ; attention_bwd.py:41:49 @[ attention_bwd.py:184:50 ]
	v_lshl_add_u64 v[4:5], v[2:3], 0, v[230:231]
	v_lshl_add_u64 v[6:7], v[2:3], 0, v[232:233]
	;; [unrolled: 1-line block ×3, first 2 shown]
.Ltmp39:
	.loc	1 171 16                        ; attention_bwd.py:171:16
	s_waitcnt lgkmcnt(0)
	scratch_store_dwordx4 off, v[60:63], off offset:32 ; 16-byte Folded Spill
	v_add_u32_e32 v246, 0, v10
	ds_read_b128 v[142:145], v245
	ds_read_b128 v[130:133], v246
	v_add_u32_e32 v248, 0, v24
	ds_read_b128 v[134:137], v247
	ds_read_b128 v[126:129], v248
	.loc	1 172 16                        ; attention_bwd.py:172:16
	s_waitcnt lgkmcnt(0)
	s_barrier
	s_waitcnt vmcnt(24)
	ds_write_b16 v176, v29
	s_waitcnt vmcnt(23)
	ds_write_b16 v176, v30 offset:4096
	s_waitcnt vmcnt(22)
	ds_write_b16 v176, v31 offset:8192
	;; [unrolled: 2-line block ×12, first 2 shown]
	ds_write_b16 v226, v56 offset:7168
	s_waitcnt vmcnt(9)
	ds_write_b16 v226, v57 offset:11264
	ds_write_b16 v226, v35 offset:15360
.Ltmp40:
	.loc	1 50 26                         ; attention_bwd.py:50:26 @[ attention_bwd.py:184:50 ]
	v_or_b32_e32 v50, s9, v82
	.loc	1 41 49                         ; attention_bwd.py:41:49 @[ attention_bwd.py:184:50 ]
	v_lshl_add_u64 v[2:3], v[2:3], 0, v[236:237]
	.loc	1 50 26                         ; attention_bwd.py:50:26 @[ attention_bwd.py:184:50 ]
	v_or_b32_e32 v51, s9, v79
	.loc	1 38 36                         ; attention_bwd.py:38:36 @[ attention_bwd.py:184:50 ]
	v_or_b32_e32 v83, 3, v82
	v_or_b32_e32 v84, 2, v82
.Ltmp41:
	.loc	1 172 16                        ; attention_bwd.py:172:16
	s_waitcnt lgkmcnt(0)
	s_barrier
.Ltmp42:
	.loc	1 48 21                         ; attention_bwd.py:48:21 @[ attention_bwd.py:184:50 ]
	global_load_ushort v24, v[4:5], off
	global_load_ushort v25, v[6:7], off
	;; [unrolled: 1-line block ×4, first 2 shown]
	.loc	1 51 24                         ; attention_bwd.py:51:24 @[ attention_bwd.py:184:50 ]
	v_ashrrev_i32_e32 v3, 31, v50
	v_ashrrev_i32_e32 v5, 31, v51
	v_mov_b32_e32 v2, v50
	v_mov_b32_e32 v4, v51
	.loc	1 50 26                         ; attention_bwd.py:50:26 @[ attention_bwd.py:184:50 ]
	v_or_b32_e32 v53, s9, v83
	v_or_b32_e32 v52, s9, v84
	.loc	1 51 24                         ; attention_bwd.py:51:24 @[ attention_bwd.py:184:50 ]
	v_lshlrev_b64 v[2:3], 2, v[2:3]
	v_lshlrev_b64 v[4:5], 2, v[4:5]
	v_ashrrev_i32_e32 v11, 31, v52
	v_mov_b32_e32 v10, v52
	v_ashrrev_i32_e32 v13, 31, v53
	v_mov_b32_e32 v12, v53
	.loc	1 64 25                         ; attention_bwd.py:64:25 @[ attention_bwd.py:184:50 ]
	v_lshl_add_u64 v[6:7], s[24:25], 0, v[2:3]
	v_lshl_add_u64 v[8:9], s[24:25], 0, v[4:5]
	.loc	1 51 24                         ; attention_bwd.py:51:24 @[ attention_bwd.py:184:50 ]
	v_lshlrev_b64 v[10:11], 2, v[10:11]
	v_lshlrev_b64 v[12:13], 2, v[12:13]
	v_lshl_add_u64 v[2:3], s[22:23], 0, v[2:3]
	.loc	1 64 25                         ; attention_bwd.py:64:25 @[ attention_bwd.py:184:50 ]
	v_lshl_add_u64 v[14:15], s[24:25], 0, v[10:11]
	v_lshl_add_u64 v[16:17], s[24:25], 0, v[12:13]
	.loc	1 64 21 is_stmt 0               ; attention_bwd.py:64:21 @[ attention_bwd.py:184:50 ]
	global_load_dword v58, v[6:7], off
	global_load_dword v59, v[8:9], off
	;; [unrolled: 1-line block ×4, first 2 shown]
	.loc	1 51 24 is_stmt 1               ; attention_bwd.py:51:24 @[ attention_bwd.py:184:50 ]
	v_lshl_add_u64 v[4:5], s[22:23], 0, v[4:5]
	v_lshl_add_u64 v[6:7], s[22:23], 0, v[10:11]
	;; [unrolled: 1-line block ×3, first 2 shown]
	.loc	1 51 20 is_stmt 0               ; attention_bwd.py:51:20 @[ attention_bwd.py:184:50 ]
	global_load_dword v65, v[2:3], off
	global_load_dword v64, v[4:5], off
	;; [unrolled: 1-line block ×4, first 2 shown]
	.loc	1 42 50 is_stmt 1               ; attention_bwd.py:42:50 @[ attention_bwd.py:184:50 ]
	v_lshl_add_u64 v[238:239], s[74:75], 0, v[80:81]
	.loc	1 58 21                         ; attention_bwd.py:58:21 @[ attention_bwd.py:184:50 ]
	global_load_ushort v29, v[88:89], off
	global_load_ushort v30, v[238:239], off
	.loc	1 42 50                         ; attention_bwd.py:42:50 @[ attention_bwd.py:184:50 ]
	v_lshl_add_u64 v[92:93], s[76:77], 0, v[80:81]
	v_lshl_add_u64 v[90:91], s[78:79], 0, v[80:81]
	.loc	1 58 21                         ; attention_bwd.py:58:21 @[ attention_bwd.py:184:50 ]
	global_load_ushort v31, v[92:93], off
	global_load_ushort v34, v[90:91], off
	v_lshlrev_b32_e32 v2, 5, v0
	v_and_b32_e32 v3, 0x2e0, v2
	v_lshl_or_b32 v3, s86, 4, v3
	v_or_b32_e32 v109, v3, v21
	v_bitop3_b32 v110, v3, 16, v21 bitop3:0x36
	v_lshlrev_b32_e32 v3, 3, v0
	v_and_b32_e32 v74, 24, v3
.Ltmp43:
	.loc	1 171 58                        ; attention_bwd.py:171:58
	v_bfe_i32 v3, v0, 5, 1
	v_and_b32_e32 v76, 12, v0
	v_lshlrev_b32_e32 v4, 6, v76
	v_and_b32_e32 v5, 0x440, v3
	v_and_b32_e32 v0, 16, v0
	v_lshlrev_b32_e32 v229, 2, v76
	v_or3_b32 v4, v4, v5, v74
	v_lshlrev_b32_e32 v75, 1, v0
	v_or_b32_e32 v0, s86, v229
	.loc	1 172 16                        ; attention_bwd.py:172:16
	ds_read_b128 v[250:253], v227
	ds_read_b128 v[218:221], v241
	;; [unrolled: 1-line block ×9, first 2 shown]
.Ltmp44:
	.loc	1 47 25                         ; attention_bwd.py:47:25 @[ attention_bwd.py:184:50 ]
	s_or_b32 s0, s84, 4
	v_bitop3_b32 v113, v4, v0, v75 bitop3:0x36
.Ltmp45:
	.loc	1 172 16                        ; attention_bwd.py:172:16
	ds_read_b128 v[4:7], v228
.Ltmp46:
	.loc	1 47 25                         ; attention_bwd.py:47:25 @[ attention_bwd.py:184:50 ]
	s_mul_i32 s0, s28, s0
	s_ashr_i32 s1, s0, 31
	s_lshl_b64 s[0:1], s[0:1], 1
	s_add_u32 s0, s73, s0
	v_lshlrev_b32_e32 v0, 1, v1
	s_addc_u32 s1, vcc_lo, s1
	v_lshl_or_b32 v0, v27, 5, v0
.Ltmp47:
	.loc	1 172 16                        ; attention_bwd.py:172:16
	s_waitcnt lgkmcnt(0)
	scratch_store_dwordx4 off, v[4:7], off offset:16 ; 16-byte Folded Spill
	ds_read_b128 v[202:205], v240
	ds_read_b128 v[4:7], v225
.Ltmp48:
	.loc	1 47 25                         ; attention_bwd.py:47:25 @[ attention_bwd.py:184:50 ]
	s_add_u32 s72, s73, s40
	v_bitop3_b32 v114, s83, v27, v0 bitop3:0x36
	v_lshl_add_u32 v0, v122, 4, 0
	v_and_b32_e32 v108, 0x108, v20
	v_and_b32_e32 v186, 0x210, v3
	s_addc_u32 s73, vcc_lo, s41
	v_add_u32_e32 v179, v0, v19
	v_and_b32_e32 v87, 0x80, v2
	v_bitop3_b32 v0, v108, v74, v186 bitop3:0x36
	s_add_u32 vcc_lo, s2, s38
.Ltmp49:
	.loc	1 165 23                        ; attention_bwd.py:165:23
	v_or_b32_e32 v201, s95, v1
	v_or3_b32 v0, v87, v0, s30
.Ltmp50:
	.loc	1 47 25                         ; attention_bwd.py:47:25 @[ attention_bwd.py:184:50 ]
	v_lshl_add_u64 v[38:39], v[198:199], 0, v[236:237]
	s_addc_u32 vcc_hi, s3, s39
	v_lshl_add_u64 v[40:41], v[198:199], 0, v[184:185]
	v_lshl_add_u64 v[42:43], v[198:199], 0, v[232:233]
	;; [unrolled: 1-line block ×3, first 2 shown]
	v_mov_b64_e32 v[196:197], v[88:89]
	.loc	1 48 21                         ; attention_bwd.py:48:21 @[ attention_bwd.py:184:50 ]
	v_add_u32_e32 v180, 0, v85
	v_or_b32_e32 v1, v0, v75
	v_bitop3_b32 v0, v0, 32, v75 bitop3:0x36
	v_mov_b32_e32 v16, 0
.Ltmp51:
	.loc	1 165 23                        ; attention_bwd.py:165:23
	v_or_b32_e32 v88, s9, v201
.Ltmp52:
	.loc	1 47 25                         ; attention_bwd.py:47:25 @[ attention_bwd.py:184:50 ]
	v_lshl_add_u64 v[38:39], vcc, 0, v[38:39]
	v_lshl_add_u64 v[40:41], vcc, 0, v[40:41]
	;; [unrolled: 1-line block ×4, first 2 shown]
	v_lshl_add_u64 v[46:47], s[98:99], 0, v[80:81]
	v_bitop3_b32 v78, v23, s16, v22 bitop3:0x36
	v_mov_b64_e32 v[254:255], v[92:93]
	v_mov_b64_e32 v[222:223], v[90:91]
	v_bitop3_b32 v111, v18, v22, v27 bitop3:0xde
	v_bitop3_b32 v112, v23, 64, v22 bitop3:0x36
.Ltmp53:
	.loc	1 172 16                        ; attention_bwd.py:172:16
	s_waitcnt lgkmcnt(0)
	scratch_store_dwordx4 off, v[4:7], off  ; 16-byte Folded Spill
.Ltmp54:
	.loc	1 48 21                         ; attention_bwd.py:48:21 @[ attention_bwd.py:184:50 ]
	s_waitcnt lgkmcnt(0)
	s_barrier
	s_waitcnt vmcnt(17)
	ds_write_b16 v180, v24
	s_waitcnt vmcnt(16)
	ds_write_b16 v180, v25 offset:1024
	s_waitcnt vmcnt(15)
	ds_write_b16 v180, v26 offset:2048
	;; [unrolled: 2-line block ×3, first 2 shown]
	.loc	1 58 21                         ; attention_bwd.py:58:21 @[ attention_bwd.py:184:50 ]
	s_waitcnt vmcnt(5)
	ds_write_b16 v176, v29 offset:4096
	s_waitcnt vmcnt(4)
	ds_write_b16 v206, v30 offset:5120
	;; [unrolled: 2-line block ×4, first 2 shown]
	v_add_u32_e32 v115, 0, v1
	v_add_u32_e32 v116, 0, v0
	v_mov_b32_e32 v17, v16
	v_mov_b32_e32 v18, v16
	;; [unrolled: 1-line block ×31, first 2 shown]
	.loc	1 56 39                         ; attention_bwd.py:56:39 @[ attention_bwd.py:184:50 ]
	v_mov_b32_e32 v85, v88
	s_mov_b32 s74, 16
	.loc	1 47 25                         ; attention_bwd.py:47:25 @[ attention_bwd.py:184:50 ]
	v_lshl_add_u64 v[54:55], s[0:1], 0, v[80:81]
.Ltmp55:
	.loc	1 171 58                        ; attention_bwd.py:171:58
	v_cmp_eq_u32_e64 s[16:17], 0, v122
.Ltmp56:
	.loc	1 47 25                         ; attention_bwd.py:47:25 @[ attention_bwd.py:184:50 ]
	v_lshl_add_u64 v[56:57], s[72:73], 0, v[80:81]
.LBB0_1:                                ; =>This Inner Loop Header: Depth=1
	.loc	1 0 25 is_stmt 0                ; attention_bwd.py:0:25
	v_mov_b64_e32 v[72:73], v[50:51]
	.loc	1 71 18 is_stmt 1               ; attention_bwd.py:71:18 @[ attention_bwd.py:184:50 ]
	s_waitcnt vmcnt(1)
	v_mov_b32_e32 v60, v32
	s_waitcnt vmcnt(0)
	v_mov_b32_e32 v61, v33
	.loc	1 72 19                         ; attention_bwd.py:72:19 @[ attention_bwd.py:184:50 ]
	s_add_i32 s0, s9, s74
	v_lshl_add_u64 v[32:33], v[44:45], 0, s[18:19]
	v_lshl_add_u64 v[50:51], v[40:41], 0, s[18:19]
	v_mov_b64_e32 v[70:71], v[52:53]
	v_lshl_add_u64 v[34:35], v[42:43], 0, s[18:19]
	.loc	1 73 19                         ; attention_bwd.py:73:19 @[ attention_bwd.py:184:50 ]
	v_lshl_add_u64 v[52:53], v[38:39], 0, s[18:19]
	.loc	1 48 21                         ; attention_bwd.py:48:21 @[ attention_bwd.py:184:50 ]
	global_load_ushort v90, v[32:33], off
	global_load_ushort v91, v[34:35], off
	;; [unrolled: 1-line block ×4, first 2 shown]
	.loc	1 50 26                         ; attention_bwd.py:50:26 @[ attention_bwd.py:184:50 ]
	v_or_b32_e32 v51, s0, v79
	v_or_b32_e32 v50, s0, v82
	;; [unrolled: 1-line block ×4, first 2 shown]
	.loc	1 51 24                         ; attention_bwd.py:51:24 @[ attention_bwd.py:184:50 ]
	v_ashrrev_i32_e32 v33, 31, v50
	v_mov_b32_e32 v32, v50
	v_ashrrev_i32_e32 v35, 31, v51
	v_mov_b32_e32 v34, v51
	v_lshlrev_b64 v[32:33], 2, v[32:33]
	v_lshlrev_b64 v[34:35], 2, v[34:35]
	v_ashrrev_i32_e32 v67, 31, v52
	v_mov_b32_e32 v66, v52
	v_ashrrev_i32_e32 v69, 31, v53
	v_mov_b32_e32 v68, v53
	.loc	1 69 26                         ; attention_bwd.py:69:26 @[ attention_bwd.py:184:50 ]
	v_add_u32_e32 v182, 0, v110
	.loc	1 51 24                         ; attention_bwd.py:51:24 @[ attention_bwd.py:184:50 ]
	v_lshl_add_u64 v[94:95], s[22:23], 0, v[32:33]
	v_lshl_add_u64 v[96:97], s[22:23], 0, v[34:35]
	v_lshlrev_b64 v[66:67], 2, v[66:67]
	v_lshlrev_b64 v[68:69], 2, v[68:69]
	.loc	1 69 26                         ; attention_bwd.py:69:26 @[ attention_bwd.py:184:50 ]
	s_waitcnt lgkmcnt(0)
	s_barrier
	ds_read_b64 v[164:165], v182
	.loc	1 48 21                         ; attention_bwd.py:48:21 @[ attention_bwd.py:184:50 ]
	ds_read_b64_tr_b16 v[168:169], v179
	ds_read_b64_tr_b16 v[170:171], v179 offset:128
	ds_read_b64_tr_b16 v[172:173], v179 offset:1024
	;; [unrolled: 1-line block ×7, first 2 shown]
	.loc	1 51 24                         ; attention_bwd.py:51:24 @[ attention_bwd.py:184:50 ]
	v_lshl_add_u64 v[138:139], s[22:23], 0, v[66:67]
	v_lshl_add_u64 v[166:167], s[22:23], 0, v[68:69]
	.loc	1 51 20 is_stmt 0               ; attention_bwd.py:51:20 @[ attention_bwd.py:184:50 ]
	global_load_dword v120, v[94:95], off
	global_load_dword v119, v[96:97], off
	;; [unrolled: 1-line block ×4, first 2 shown]
	.loc	1 52 24 is_stmt 1               ; attention_bwd.py:52:24 @[ attention_bwd.py:184:50 ]
	s_waitcnt lgkmcnt(6)
	v_mfma_f32_16x16x32_f16 v[94:97], v[168:171], v[142:145], 0
	.loc	1 73 19                         ; attention_bwd.py:73:19 @[ attention_bwd.py:184:50 ]
	v_lshl_add_u64 v[98:99], v[56:57], 0, s[18:19]
	v_lshl_add_u64 v[100:101], v[54:55], 0, s[18:19]
	.loc	1 66 24                         ; attention_bwd.py:66:24 @[ attention_bwd.py:184:50 ]
	v_add_u32_e32 v121, 0, v111
	.loc	1 52 24                         ; attention_bwd.py:52:24 @[ attention_bwd.py:184:50 ]
	s_waitcnt lgkmcnt(4)
	v_mfma_f32_16x16x32_f16 v[94:97], v[172:175], v[130:133], v[94:97]
	.loc	1 73 19                         ; attention_bwd.py:73:19 @[ attention_bwd.py:184:50 ]
	v_lshl_add_u64 v[102:103], v[48:49], 0, s[18:19]
	.loc	1 48 21                         ; attention_bwd.py:48:21 @[ attention_bwd.py:184:50 ]
	v_lshl_add_u64 v[124:125], v[46:47], 0, s[18:19]
	.loc	1 66 24                         ; attention_bwd.py:66:24 @[ attention_bwd.py:184:50 ]
	v_add_u32_e32 v123, 0, v77
	.loc	1 52 24                         ; attention_bwd.py:52:24 @[ attention_bwd.py:184:50 ]
	s_waitcnt lgkmcnt(2)
	v_mfma_f32_16x16x32_f16 v[94:97], v[188:191], v[134:137], v[94:97]
	.loc	1 66 24                         ; attention_bwd.py:66:24 @[ attention_bwd.py:184:50 ]
	ds_read_b128 v[188:191], v123 offset:4096
	.loc	1 57 36                         ; attention_bwd.py:57:36 @[ attention_bwd.py:184:50 ]
	v_cmp_ge_i32_e32 vcc, v73, v85
	.loc	1 69 26                         ; attention_bwd.py:69:26 @[ attention_bwd.py:184:50 ]
	v_add_u32_e32 v181, 0, v109
	.loc	1 52 24                         ; attention_bwd.py:52:24 @[ attention_bwd.py:184:50 ]
	s_waitcnt lgkmcnt(1)
	v_mfma_f32_16x16x32_f16 v[94:97], v[192:195], v[126:129], v[94:97]
	.loc	1 58 21                         ; attention_bwd.py:58:21 @[ attention_bwd.py:184:50 ]
	v_add_u32_e32 v207, 0, v113
	.loc	1 69 26                         ; attention_bwd.py:69:26 @[ attention_bwd.py:184:50 ]
	ds_read_b64 v[162:163], v181
	.loc	1 58 21                         ; attention_bwd.py:58:21 @[ attention_bwd.py:184:50 ]
	ds_read_b64_tr_b16 v[166:167], v207 offset:4096
	.loc	1 64 25                         ; attention_bwd.py:64:25 @[ attention_bwd.py:184:50 ]
	v_lshl_add_u64 v[66:67], s[24:25], 0, v[66:67]
	v_lshl_add_u64 v[68:69], s[24:25], 0, v[68:69]
	.loc	1 53 32                         ; attention_bwd.py:53:32 @[ attention_bwd.py:184:50 ]
	s_nop 2
	v_sub_f32_e32 v65, v94, v65
	v_sub_f32_e32 v64, v95, v64
	;; [unrolled: 1-line block ×4, first 2 shown]
	.loc	1 58 21                         ; attention_bwd.py:58:21 @[ attention_bwd.py:184:50 ]
	global_load_ushort v94, v[98:99], off
	global_load_ushort v95, v[100:101], off
	;; [unrolled: 1-line block ×4, first 2 shown]
	.loc	1 66 24                         ; attention_bwd.py:66:24 @[ attention_bwd.py:184:50 ]
	ds_read_b128 v[98:101], v121 offset:4096
	v_add_u32_e32 v124, 0, v112
	ds_read_b128 v[170:173], v124 offset:4096
	.loc	1 53 26                         ; attention_bwd.py:53:26 @[ attention_bwd.py:184:50 ]
	v_exp_f32_e32 v141, v62
	v_xor_b32_e32 v62, 0x80, v113
	v_exp_f32_e32 v89, v65
	v_exp_f32_e32 v138, v64
	v_exp_f32_e32 v139, v63
	.loc	1 58 21                         ; attention_bwd.py:58:21 @[ attention_bwd.py:184:50 ]
	v_add_u32_e32 v208, 0, v62
	.loc	1 64 25                         ; attention_bwd.py:64:25 @[ attention_bwd.py:184:50 ]
	v_lshl_add_u64 v[62:63], s[24:25], 0, v[32:33]
	v_lshl_add_u64 v[64:65], s[24:25], 0, v[34:35]
	.loc	1 66 24                         ; attention_bwd.py:66:24 @[ attention_bwd.py:184:50 ]
	s_waitcnt lgkmcnt(1)
	v_mfma_f32_16x16x32_f16 v[32:35], v[98:101], v[158:161], 0
	v_add_u32_e32 v125, 0, v78
	ds_read_b128 v[192:195], v125 offset:4096
	.loc	1 57 36                         ; attention_bwd.py:57:36 @[ attention_bwd.py:184:50 ]
	v_cndmask_b32_e32 v73, 0, v138, vcc
	.loc	1 66 24                         ; attention_bwd.py:66:24 @[ attention_bwd.py:184:50 ]
	s_waitcnt lgkmcnt(1)
	v_mfma_f32_16x16x32_f16 v[32:35], v[170:173], v[154:157], v[32:35]
	.loc	1 57 36                         ; attention_bwd.py:57:36 @[ attention_bwd.py:184:50 ]
	v_cmp_ge_i32_e32 vcc, v72, v88
	.loc	1 58 21                         ; attention_bwd.py:58:21 @[ attention_bwd.py:184:50 ]
	ds_read_b64_tr_b16 v[168:169], v208 offset:6144
	.loc	1 47 25                         ; attention_bwd.py:47:25 @[ attention_bwd.py:184:50 ]
	s_add_i32 s74, s74, 16
	.loc	1 66 24                         ; attention_bwd.py:66:24 @[ attention_bwd.py:184:50 ]
	v_mfma_f32_16x16x32_f16 v[32:35], v[188:191], v[150:153], v[32:35]
	.loc	1 57 36                         ; attention_bwd.py:57:36 @[ attention_bwd.py:184:50 ]
	v_cndmask_b32_e32 v72, 0, v89, vcc
	.loc	1 61 21                         ; attention_bwd.py:61:21 @[ attention_bwd.py:184:50 ]
	v_cvt_f16_f32_e32 v89, v72
	.loc	1 57 36                         ; attention_bwd.py:57:36 @[ attention_bwd.py:184:50 ]
	v_cmp_ge_i32_e32 vcc, v71, v85
	.loc	1 66 24                         ; attention_bwd.py:66:24 @[ attention_bwd.py:184:50 ]
	s_waitcnt lgkmcnt(1)
	v_mfma_f32_16x16x32_f16 v[32:35], v[192:195], v[146:149], v[32:35]
	.loc	1 61 21                         ; attention_bwd.py:61:21 @[ attention_bwd.py:184:50 ]
	v_add_u32_e32 v189, 0, v114
	.loc	1 57 36                         ; attention_bwd.py:57:36 @[ attention_bwd.py:184:50 ]
	v_cndmask_b32_e32 v71, 0, v141, vcc
	v_cmp_ge_i32_e32 vcc, v70, v88
	.loc	1 61 21                         ; attention_bwd.py:61:21 @[ attention_bwd.py:184:50 ]
	ds_write_b16 v189, v89 offset:8192
	v_cvt_f16_f32_e32 v89, v73
	.loc	1 67 26                         ; attention_bwd.py:67:26 @[ attention_bwd.py:184:50 ]
	s_nop 2
	v_pk_add_f32 v[32:33], v[32:33], v[58:59] neg_lo:[0,1] neg_hi:[0,1]
	.loc	1 57 36                         ; attention_bwd.py:57:36 @[ attention_bwd.py:184:50 ]
	v_cndmask_b32_e32 v70, 0, v139, vcc
	.loc	1 67 20                         ; attention_bwd.py:67:20 @[ attention_bwd.py:184:50 ]
	v_pk_mul_f32 v[72:73], v[72:73], v[32:33]
	.loc	1 61 21                         ; attention_bwd.py:61:21 @[ attention_bwd.py:184:50 ]
	v_cvt_f16_f32_e32 v32, v70
	v_xor_b32_e32 v33, 8, v114
	v_add_u32_e32 v200, 0, v33
	ds_write_b16 v189, v89 offset:8320
	ds_write_b16 v200, v32 offset:8448
	v_cvt_f16_f32_e32 v32, v71
	.loc	1 67 26                         ; attention_bwd.py:67:26 @[ attention_bwd.py:184:50 ]
	v_pk_add_f32 v[34:35], v[34:35], v[60:61] neg_lo:[0,1] neg_hi:[0,1]
	.loc	1 68 21                         ; attention_bwd.py:68:21 @[ attention_bwd.py:184:50 ]
	v_cvt_f16_f32_e32 v60, v72
	.loc	1 67 20                         ; attention_bwd.py:67:20 @[ attention_bwd.py:184:50 ]
	v_pk_mul_f32 v[34:35], v[70:71], v[34:35]
	.loc	1 61 21                         ; attention_bwd.py:61:21 @[ attention_bwd.py:184:50 ]
	ds_write_b16 v200, v32 offset:8576
	s_waitcnt lgkmcnt(0)
	s_barrier
	.loc	1 64 21                         ; attention_bwd.py:64:21 @[ attention_bwd.py:184:50 ]
	global_load_dword v58, v[62:63], off
	global_load_dword v59, v[64:65], off
	;; [unrolled: 1-line block ×4, first 2 shown]
	.loc	1 61 21                         ; attention_bwd.py:61:21 @[ attention_bwd.py:184:50 ]
	ds_read_b64_tr_b16 v[98:99], v115 offset:8192
	ds_read_b64_tr_b16 v[100:101], v116 offset:9216
	.loc	1 68 21                         ; attention_bwd.py:68:21 @[ attention_bwd.py:184:50 ]
	s_waitcnt lgkmcnt(0)
	s_barrier
	ds_write_b16 v189, v60 offset:8192
	v_cvt_f16_f32_e32 v60, v73
	v_cvt_f16_f32_e32 v34, v34
	.loc	1 62 26                         ; attention_bwd.py:62:26 @[ attention_bwd.py:184:50 ]
	v_mfma_f32_32x32x16_f16 v[16:31], v[166:169], v[98:101], v[16:31]
	.loc	1 47 25                         ; attention_bwd.py:47:25 @[ attention_bwd.py:184:50 ]
	v_lshl_add_u64 v[46:47], v[46:47], 0, s[38:39]
	.loc	1 68 21                         ; attention_bwd.py:68:21 @[ attention_bwd.py:184:50 ]
	ds_write_b16 v189, v60 offset:8320
	ds_write_b16 v200, v34 offset:8448
	v_cvt_f16_f32_e32 v34, v35
	.loc	1 47 25                         ; attention_bwd.py:47:25 @[ attention_bwd.py:184:50 ]
	v_lshl_add_u64 v[48:49], v[48:49], 0, s[38:39]
	v_lshl_add_u64 v[54:55], v[54:55], 0, s[38:39]
	;; [unrolled: 1-line block ×3, first 2 shown]
	.loc	1 68 21                         ; attention_bwd.py:68:21 @[ attention_bwd.py:184:50 ]
	ds_write_b16 v200, v34 offset:8576
	s_waitcnt lgkmcnt(0)
	s_barrier
	ds_read_b64_tr_b16 v[60:61], v115 offset:8192
	ds_read_b64_tr_b16 v[62:63], v116 offset:9216
	.loc	1 69 26                         ; attention_bwd.py:69:26 @[ attention_bwd.py:184:50 ]
	s_waitcnt lgkmcnt(0)
	v_mfma_f32_32x32x16_f16 v[0:15], v[162:165], v[60:63], v[0:15]
	.loc	1 47 25                         ; attention_bwd.py:47:25 @[ attention_bwd.py:184:50 ]
	v_lshl_add_u64 v[38:39], v[38:39], 0, s[38:39]
	v_lshl_add_u64 v[40:41], v[40:41], 0, s[38:39]
	;; [unrolled: 1-line block ×4, first 2 shown]
	s_cmp_lg_u32 s74, 64
	s_waitcnt vmcnt(8)
	v_mov_b32_e32 v62, v117
	v_mov_b32_e32 v63, v118
	;; [unrolled: 1-line block ×4, first 2 shown]
	.loc	1 48 21                         ; attention_bwd.py:48:21 @[ attention_bwd.py:184:50 ]
	ds_write_b16 v180, v90
	ds_write_b16 v180, v91 offset:1024
	ds_write_b16 v180, v92 offset:2048
	;; [unrolled: 1-line block ×3, first 2 shown]
	.loc	1 58 21                         ; attention_bwd.py:58:21 @[ attention_bwd.py:184:50 ]
	s_waitcnt vmcnt(7)
	ds_write_b16 v176, v94 offset:4096
	s_waitcnt vmcnt(6)
	ds_write_b16 v206, v95 offset:5120
	;; [unrolled: 2-line block ×4, first 2 shown]
	.loc	1 47 25                         ; attention_bwd.py:47:25 @[ attention_bwd.py:184:50 ]
	s_cbranch_scc1 .LBB0_1
; %bb.2:
	.loc	1 69 26                         ; attention_bwd.py:69:26 @[ attention_bwd.py:184:50 ]
	s_waitcnt lgkmcnt(0)
	s_barrier
	.loc	1 48 21                         ; attention_bwd.py:48:21 @[ attention_bwd.py:184:50 ]
	ds_read_b64_tr_b16 v[38:39], v179
	ds_read_b64_tr_b16 v[40:41], v179 offset:128
	ds_read_b64_tr_b16 v[42:43], v179 offset:1024
	;; [unrolled: 1-line block ×3, first 2 shown]
	.loc	1 52 24                         ; attention_bwd.py:52:24 @[ attention_bwd.py:184:50 ]
	s_waitcnt lgkmcnt(2)
	v_mfma_f32_16x16x32_f16 v[38:41], v[38:41], v[142:145], 0
	.loc	1 48 21                         ; attention_bwd.py:48:21 @[ attention_bwd.py:184:50 ]
	ds_read_b64_tr_b16 v[46:47], v179 offset:2048
	ds_read_b64_tr_b16 v[48:49], v179 offset:2176
	.loc	1 66 24                         ; attention_bwd.py:66:24 @[ attention_bwd.py:184:50 ]
	ds_read_b128 v[64:67], v123 offset:4096
	ds_read_b128 v[68:71], v125 offset:4096
	.loc	1 57 36                         ; attention_bwd.py:57:36 @[ attention_bwd.py:184:50 ]
	v_cmp_ge_i32_e32 vcc, v51, v85
	.loc	1 52 24                         ; attention_bwd.py:52:24 @[ attention_bwd.py:184:50 ]
	s_waitcnt lgkmcnt(4)
	v_mfma_f32_16x16x32_f16 v[38:41], v[42:45], v[130:133], v[38:41]
	.loc	1 48 21                         ; attention_bwd.py:48:21 @[ attention_bwd.py:184:50 ]
	ds_read_b64_tr_b16 v[42:43], v179 offset:3072
	ds_read_b64_tr_b16 v[44:45], v179 offset:3200
	.loc	1 58 21                         ; attention_bwd.py:58:21 @[ attention_bwd.py:184:50 ]
	ds_read_b64_tr_b16 v[90:91], v207 offset:4096
	ds_read_b64_tr_b16 v[92:93], v208 offset:6144
	.loc	1 52 24                         ; attention_bwd.py:52:24 @[ attention_bwd.py:184:50 ]
	s_waitcnt lgkmcnt(6)
	v_mfma_f32_16x16x32_f16 v[38:41], v[46:49], v[134:137], v[38:41]
	.loc	1 69 26                         ; attention_bwd.py:69:26 @[ attention_bwd.py:184:50 ]
	ds_read_b64 v[54:55], v181
	ds_read_b64 v[56:57], v182
	.loc	1 66 24                         ; attention_bwd.py:66:24 @[ attention_bwd.py:184:50 ]
	ds_read_b128 v[46:49], v121 offset:4096
	ds_read_b128 v[60:63], v124 offset:4096
	.loc	1 52 24                         ; attention_bwd.py:52:24 @[ attention_bwd.py:184:50 ]
	s_waitcnt lgkmcnt(6)
	v_mfma_f32_16x16x32_f16 v[38:41], v[42:45], v[126:129], v[38:41]
	.loc	1 61 21                         ; attention_bwd.py:61:21 @[ attention_bwd.py:184:50 ]
	v_xor_b32_e32 v44, v108, v74
	v_xor_b32_e32 v44, v44, v186
	v_or3_b32 v44, v87, v44, s30
	v_or_b32_e32 v45, v44, v75
	v_bitop3_b32 v44, v44, 32, v75 bitop3:0x36
	.loc	1 53 32                         ; attention_bwd.py:53:32 @[ attention_bwd.py:184:50 ]
	s_nop 2
	v_sub_f32_e32 v34, v38, v120
	v_sub_f32_e32 v35, v39, v119
	;; [unrolled: 1-line block ×4, first 2 shown]
	.loc	1 53 26 is_stmt 0               ; attention_bwd.py:53:26 @[ attention_bwd.py:184:50 ]
	v_exp_f32_e32 v42, v38
	v_exp_f32_e32 v43, v39
	.loc	1 66 24 is_stmt 1               ; attention_bwd.py:66:24 @[ attention_bwd.py:184:50 ]
	s_waitcnt lgkmcnt(1)
	v_mfma_f32_16x16x32_f16 v[38:41], v[46:49], v[158:161], 0
	.loc	1 53 26                         ; attention_bwd.py:53:26 @[ attention_bwd.py:184:50 ]
	v_exp_f32_e32 v35, v35
	v_exp_f32_e32 v34, v34
	.loc	1 61 21                         ; attention_bwd.py:61:21 @[ attention_bwd.py:184:50 ]
	v_add_u32_e32 v177, 0, v45
	.loc	1 66 24                         ; attention_bwd.py:66:24 @[ attention_bwd.py:184:50 ]
	s_waitcnt lgkmcnt(0)
	v_mfma_f32_16x16x32_f16 v[38:41], v[60:63], v[154:157], v[38:41]
	.loc	1 57 36                         ; attention_bwd.py:57:36 @[ attention_bwd.py:184:50 ]
	v_cndmask_b32_e32 v35, 0, v35, vcc
	v_cmp_ge_i32_e32 vcc, v50, v88
	.loc	1 61 21                         ; attention_bwd.py:61:21 @[ attention_bwd.py:184:50 ]
	v_add_u32_e32 v178, 0, v44
	.loc	1 66 24                         ; attention_bwd.py:66:24 @[ attention_bwd.py:184:50 ]
	v_mfma_f32_16x16x32_f16 v[38:41], v[64:67], v[150:153], v[38:41]
	.loc	1 57 36                         ; attention_bwd.py:57:36 @[ attention_bwd.py:184:50 ]
	v_cndmask_b32_e32 v34, 0, v34, vcc
	v_cmp_ge_i32_e32 vcc, v53, v85
	.loc	1 61 21                         ; attention_bwd.py:61:21 @[ attention_bwd.py:184:50 ]
	v_cvt_f16_f32_e32 v44, v34
	.loc	1 66 24                         ; attention_bwd.py:66:24 @[ attention_bwd.py:184:50 ]
	v_mfma_f32_16x16x32_f16 v[38:41], v[68:71], v[146:149], v[38:41]
	.loc	1 61 21                         ; attention_bwd.py:61:21 @[ attention_bwd.py:184:50 ]
	v_cvt_f16_f32_e32 v45, v35
	.loc	1 57 36                         ; attention_bwd.py:57:36 @[ attention_bwd.py:184:50 ]
	v_cndmask_b32_e32 v43, 0, v43, vcc
	v_cmp_ge_i32_e32 vcc, v52, v88
	.loc	1 61 21                         ; attention_bwd.py:61:21 @[ attention_bwd.py:184:50 ]
	v_cvt_f16_f32_e32 v47, v43
.Ltmp57:
	.loc	1 188 19                        ; attention_bwd.py:188:19
	s_add_i32 s30, s9, 64
.Ltmp58:
	.loc	1 67 26                         ; attention_bwd.py:67:26 @[ attention_bwd.py:184:50 ]
	s_waitcnt vmcnt(2)
	s_nop 1
	v_pk_add_f32 v[38:39], v[38:39], v[58:59] neg_lo:[0,1] neg_hi:[0,1]
	.loc	1 57 36                         ; attention_bwd.py:57:36 @[ attention_bwd.py:184:50 ]
	v_cndmask_b32_e32 v42, 0, v42, vcc
	.loc	1 67 20                         ; attention_bwd.py:67:20 @[ attention_bwd.py:184:50 ]
	v_pk_mul_f32 v[34:35], v[34:35], v[38:39]
	.loc	1 67 26 is_stmt 0               ; attention_bwd.py:67:26 @[ attention_bwd.py:184:50 ]
	s_waitcnt vmcnt(0)
	v_pk_add_f32 v[32:33], v[40:41], v[32:33] neg_lo:[0,1] neg_hi:[0,1]
	.loc	1 68 21 is_stmt 1               ; attention_bwd.py:68:21 @[ attention_bwd.py:184:50 ]
	v_cvt_f16_f32_e32 v34, v34
	.loc	1 67 20                         ; attention_bwd.py:67:20 @[ attention_bwd.py:184:50 ]
	v_pk_mul_f32 v[32:33], v[42:43], v[32:33]
	.loc	1 68 21                         ; attention_bwd.py:68:21 @[ attention_bwd.py:184:50 ]
	v_cvt_f16_f32_e32 v35, v35
	.loc	1 61 21                         ; attention_bwd.py:61:21 @[ attention_bwd.py:184:50 ]
	v_cvt_f16_f32_e32 v46, v42
	;; [unrolled: 2-line block ×3, first 2 shown]
	v_cvt_f16_f32_e32 v33, v33
	.loc	1 61 21                         ; attention_bwd.py:61:21 @[ attention_bwd.py:184:50 ]
	ds_write_b16 v189, v44 offset:8192
	ds_write_b16 v189, v45 offset:8320
	;; [unrolled: 1-line block ×4, first 2 shown]
	s_waitcnt lgkmcnt(0)
	s_barrier
	ds_read_b64_tr_b16 v[44:45], v177 offset:8192
	ds_read_b64_tr_b16 v[46:47], v178 offset:9216
	.loc	1 68 21                         ; attention_bwd.py:68:21 @[ attention_bwd.py:184:50 ]
	s_waitcnt lgkmcnt(0)
	s_barrier
	ds_write_b16 v189, v34 offset:8192
	ds_write_b16 v189, v35 offset:8320
	;; [unrolled: 1-line block ×4, first 2 shown]
	s_waitcnt lgkmcnt(0)
	s_barrier
	ds_read_b64_tr_b16 v[38:39], v177 offset:8192
	ds_read_b64_tr_b16 v[40:41], v178 offset:9216
	.loc	1 62 26                         ; attention_bwd.py:62:26 @[ attention_bwd.py:184:50 ]
	v_mfma_f32_32x32x16_f16 v[16:31], v[90:93], v[44:47], v[16:31]
.Ltmp59:
	.loc	1 38 23                         ; attention_bwd.py:38:23 @[ attention_bwd.py:200:26 ]
	v_or_b32_e32 v32, s30, v183
.Ltmp60:
	.loc	1 41 56                         ; attention_bwd.py:41:56 @[ attention_bwd.py:184:50 ]
	v_lshrrev_b32_e32 v34, 5, v86
.Ltmp61:
	.loc	1 191 25                        ; attention_bwd.py:191:25
	s_sub_i32 s74, s31, s30
.Ltmp62:
	.loc	1 41 36                         ; attention_bwd.py:41:36 @[ attention_bwd.py:200:26 ]
	v_mul_lo_u32 v32, s28, v32
.Ltmp63:
	.loc	1 41 67 is_stmt 0               ; attention_bwd.py:41:67 @[ attention_bwd.py:184:50 ]
	v_mul_lo_u32 v174, v34, s29
.Ltmp64:
	.loc	1 41 18                         ; attention_bwd.py:41:18 @[ attention_bwd.py:200:26 ]
	v_ashrrev_i32_e32 v33, 31, v32
	.loc	1 47 25 is_stmt 1               ; attention_bwd.py:47:25 @[ attention_bwd.py:200:26 ]
	s_cmp_gt_i32 s74, 31
.Ltmp65:
	.loc	1 69 26                         ; attention_bwd.py:69:26 @[ attention_bwd.py:184:50 ]
	s_waitcnt lgkmcnt(0)
	v_mfma_f32_32x32x16_f16 v[0:15], v[54:57], v[38:41], v[0:15]
.Ltmp66:
	.loc	1 41 18                         ; attention_bwd.py:41:18 @[ attention_bwd.py:200:26 ]
	v_lshl_add_u64 v[32:33], v[32:33], 1, s[36:37]
	.loc	1 47 25                         ; attention_bwd.py:47:25 @[ attention_bwd.py:200:26 ]
	s_cselect_b64 s[72:73], -1, 0
	s_cmp_lt_i32 s74, 32
	.loc	1 41 49                         ; attention_bwd.py:41:49 @[ attention_bwd.py:200:26 ]
	v_ashrrev_i32_e32 v175, 31, v174
	scratch_store_dwordx4 off, v[250:253], off offset:336 ; 16-byte Folded Spill
	.loc	1 48 21                         ; attention_bwd.py:48:21 @[ attention_bwd.py:200:26 ]
	s_cbranch_scc1 .LBB0_4
; %bb.3:
	.loc	1 41 49                         ; attention_bwd.py:41:49 @[ attention_bwd.py:200:26 ]
	v_lshl_add_u64 v[38:39], v[174:175], 1, v[32:33]
	.loc	1 48 21                         ; attention_bwd.py:48:21 @[ attention_bwd.py:200:26 ]
	global_load_ushort v38, v[38:39], off
	s_branch .LBB0_5
.Ltmp67:
.LBB0_4:
	.loc	1 0 21 is_stmt 0                ; attention_bwd.py:0:21
	v_mov_b32_e32 v38, 0
.LBB0_5:
	scratch_load_dwordx4 v[108:111], off, off offset:112 ; 16-byte Folded Reload
	scratch_load_dwordx4 v[112:115], off, off offset:128 ; 16-byte Folded Reload
.Ltmp68:
	.loc	1 41 56 is_stmt 1               ; attention_bwd.py:41:56 @[ attention_bwd.py:184:50 ]
	v_or_b32_e32 v35, 16, v34
	.loc	1 41 67 is_stmt 0               ; attention_bwd.py:41:67 @[ attention_bwd.py:184:50 ]
	v_mul_lo_u32 v250, v35, s29
.Ltmp69:
	.loc	1 48 21 is_stmt 1               ; attention_bwd.py:48:21 @[ attention_bwd.py:200:26 ]
	v_cndmask_b32_e64 v35, 0, 1, s[72:73]
	v_lshlrev_b32_e32 v78, 8, v183
	v_cmp_ne_u32_e64 s[0:1], 1, v35
	s_andn2_b64 vcc, exec, s[72:73]
	.loc	1 41 49                         ; attention_bwd.py:41:49 @[ attention_bwd.py:200:26 ]
	v_ashrrev_i32_e32 v251, 31, v250
	.loc	1 48 21                         ; attention_bwd.py:48:21 @[ attention_bwd.py:200:26 ]
	s_cbranch_vccnz .LBB0_7
; %bb.6:
	.loc	1 41 49                         ; attention_bwd.py:41:49 @[ attention_bwd.py:200:26 ]
	v_lshl_add_u64 v[40:41], v[250:251], 1, v[32:33]
	.loc	1 48 21                         ; attention_bwd.py:48:21 @[ attention_bwd.py:200:26 ]
	global_load_ushort v39, v[40:41], off
	s_branch .LBB0_8
.Ltmp70:
.LBB0_7:
	.loc	1 0 21 is_stmt 0                ; attention_bwd.py:0:21
	v_mov_b32_e32 v39, 0
.LBB0_8:
	scratch_load_dwordx4 v[190:193], off, off ; 16-byte Folded Reload
.Ltmp71:
	.loc	1 41 56 is_stmt 1               ; attention_bwd.py:41:56 @[ attention_bwd.py:184:50 ]
	v_or_b32_e32 v35, 32, v34
	.loc	1 41 67 is_stmt 0               ; attention_bwd.py:41:67 @[ attention_bwd.py:184:50 ]
	v_mul_lo_u32 v252, v35, s29
	v_mov_b64_e32 v[162:163], v[222:223]
	v_mov_b64_e32 v[164:165], v[254:255]
.Ltmp72:
	.loc	1 48 21 is_stmt 1               ; attention_bwd.py:48:21 @[ attention_bwd.py:200:26 ]
	s_and_b64 vcc, exec, s[0:1]
	.loc	1 41 49                         ; attention_bwd.py:41:49 @[ attention_bwd.py:200:26 ]
	v_ashrrev_i32_e32 v253, 31, v252
	.loc	1 48 21                         ; attention_bwd.py:48:21 @[ attention_bwd.py:200:26 ]
	s_cbranch_vccnz .LBB0_10
; %bb.9:
	.loc	1 41 49                         ; attention_bwd.py:41:49 @[ attention_bwd.py:200:26 ]
	v_lshl_add_u64 v[40:41], v[252:253], 1, v[32:33]
	.loc	1 48 21                         ; attention_bwd.py:48:21 @[ attention_bwd.py:200:26 ]
	global_load_ushort v40, v[40:41], off
	s_branch .LBB0_11
.Ltmp73:
.LBB0_10:
	.loc	1 0 21 is_stmt 0                ; attention_bwd.py:0:21
	v_mov_b32_e32 v40, 0
.LBB0_11:
.Ltmp74:
	.loc	1 41 56 is_stmt 1               ; attention_bwd.py:41:56 @[ attention_bwd.py:184:50 ]
	v_or_b32_e32 v35, 48, v34
	.loc	1 41 67 is_stmt 0               ; attention_bwd.py:41:67 @[ attention_bwd.py:184:50 ]
	v_mul_lo_u32 v254, v35, s29
.Ltmp75:
	.loc	1 48 21 is_stmt 1               ; attention_bwd.py:48:21 @[ attention_bwd.py:200:26 ]
	s_and_b64 vcc, exec, s[0:1]
	.loc	1 41 49                         ; attention_bwd.py:41:49 @[ attention_bwd.py:200:26 ]
	v_ashrrev_i32_e32 v255, 31, v254
	.loc	1 48 21                         ; attention_bwd.py:48:21 @[ attention_bwd.py:200:26 ]
	s_cbranch_vccnz .LBB0_13
; %bb.12:
	.loc	1 41 49                         ; attention_bwd.py:41:49 @[ attention_bwd.py:200:26 ]
	v_lshl_add_u64 v[42:43], v[254:255], 1, v[32:33]
	.loc	1 48 21                         ; attention_bwd.py:48:21 @[ attention_bwd.py:200:26 ]
	global_load_ushort v41, v[42:43], off
	s_branch .LBB0_14
.Ltmp76:
.LBB0_13:
	.loc	1 0 21 is_stmt 0                ; attention_bwd.py:0:21
	v_mov_b32_e32 v41, 0
.LBB0_14:
.Ltmp77:
	.loc	1 41 56 is_stmt 1               ; attention_bwd.py:41:56 @[ attention_bwd.py:184:50 ]
	v_or_b32_e32 v35, 64, v34
	.loc	1 41 67 is_stmt 0               ; attention_bwd.py:41:67 @[ attention_bwd.py:184:50 ]
	v_mul_lo_u32 v42, v35, s29
.Ltmp78:
	.loc	1 48 21 is_stmt 1               ; attention_bwd.py:48:21 @[ attention_bwd.py:200:26 ]
	s_and_b64 vcc, exec, s[0:1]
	.loc	1 41 49                         ; attention_bwd.py:41:49 @[ attention_bwd.py:200:26 ]
	v_ashrrev_i32_e32 v43, 31, v42
	.loc	1 48 21                         ; attention_bwd.py:48:21 @[ attention_bwd.py:200:26 ]
	scratch_store_dwordx2 off, v[42:43], off offset:232 ; 8-byte Folded Spill
	s_cbranch_vccnz .LBB0_16
; %bb.15:
	.loc	1 41 49                         ; attention_bwd.py:41:49 @[ attention_bwd.py:200:26 ]
	v_lshl_add_u64 v[42:43], v[42:43], 1, v[32:33]
	.loc	1 48 21                         ; attention_bwd.py:48:21 @[ attention_bwd.py:200:26 ]
	global_load_ushort v42, v[42:43], off
	s_branch .LBB0_17
.Ltmp79:
.LBB0_16:
	.loc	1 0 21 is_stmt 0                ; attention_bwd.py:0:21
	v_mov_b32_e32 v42, 0
.LBB0_17:
.Ltmp80:
	.loc	1 41 56 is_stmt 1               ; attention_bwd.py:41:56 @[ attention_bwd.py:184:50 ]
	v_or_b32_e32 v35, 0x50, v34
	.loc	1 41 67 is_stmt 0               ; attention_bwd.py:41:67 @[ attention_bwd.py:184:50 ]
	v_mul_lo_u32 v44, v35, s29
.Ltmp81:
	.loc	1 48 21 is_stmt 1               ; attention_bwd.py:48:21 @[ attention_bwd.py:200:26 ]
	s_and_b64 vcc, exec, s[0:1]
	.loc	1 41 49                         ; attention_bwd.py:41:49 @[ attention_bwd.py:200:26 ]
	v_ashrrev_i32_e32 v45, 31, v44
	.loc	1 48 21                         ; attention_bwd.py:48:21 @[ attention_bwd.py:200:26 ]
	scratch_store_dwordx2 off, v[44:45], off offset:240 ; 8-byte Folded Spill
	s_cbranch_vccnz .LBB0_19
; %bb.18:
	.loc	1 41 49                         ; attention_bwd.py:41:49 @[ attention_bwd.py:200:26 ]
	v_lshl_add_u64 v[44:45], v[44:45], 1, v[32:33]
	.loc	1 48 21                         ; attention_bwd.py:48:21 @[ attention_bwd.py:200:26 ]
	global_load_ushort v43, v[44:45], off
	s_branch .LBB0_20
.Ltmp82:
.LBB0_19:
	.loc	1 0 21 is_stmt 0                ; attention_bwd.py:0:21
	v_mov_b32_e32 v43, 0
.LBB0_20:
.Ltmp83:
	.loc	1 41 56 is_stmt 1               ; attention_bwd.py:41:56 @[ attention_bwd.py:184:50 ]
	v_or_b32_e32 v35, 0x60, v34
	.loc	1 41 67 is_stmt 0               ; attention_bwd.py:41:67 @[ attention_bwd.py:184:50 ]
	v_mul_lo_u32 v44, v35, s29
.Ltmp84:
	.loc	1 48 21 is_stmt 1               ; attention_bwd.py:48:21 @[ attention_bwd.py:200:26 ]
	s_and_b64 vcc, exec, s[0:1]
	.loc	1 41 49                         ; attention_bwd.py:41:49 @[ attention_bwd.py:200:26 ]
	v_ashrrev_i32_e32 v45, 31, v44
	.loc	1 48 21                         ; attention_bwd.py:48:21 @[ attention_bwd.py:200:26 ]
	scratch_store_dwordx2 off, v[44:45], off offset:248 ; 8-byte Folded Spill
	s_cbranch_vccnz .LBB0_22
; %bb.21:
	.loc	1 41 49                         ; attention_bwd.py:41:49 @[ attention_bwd.py:200:26 ]
	v_lshl_add_u64 v[44:45], v[44:45], 1, v[32:33]
	.loc	1 48 21                         ; attention_bwd.py:48:21 @[ attention_bwd.py:200:26 ]
	global_load_ushort v44, v[44:45], off
	s_branch .LBB0_23
.Ltmp85:
.LBB0_22:
	.loc	1 0 21 is_stmt 0                ; attention_bwd.py:0:21
	v_mov_b32_e32 v44, 0
.LBB0_23:
.Ltmp86:
	.loc	1 41 56 is_stmt 1               ; attention_bwd.py:41:56 @[ attention_bwd.py:184:50 ]
	v_or_b32_e32 v34, 0x70, v34
	.loc	1 41 67 is_stmt 0               ; attention_bwd.py:41:67 @[ attention_bwd.py:184:50 ]
	v_mul_lo_u32 v34, v34, s29
.Ltmp87:
	.loc	1 48 21 is_stmt 1               ; attention_bwd.py:48:21 @[ attention_bwd.py:200:26 ]
	s_and_b64 vcc, exec, s[0:1]
	.loc	1 41 49                         ; attention_bwd.py:41:49 @[ attention_bwd.py:200:26 ]
	v_ashrrev_i32_e32 v35, 31, v34
	.loc	1 48 21                         ; attention_bwd.py:48:21 @[ attention_bwd.py:200:26 ]
	s_cbranch_vccnz .LBB0_33
; %bb.24:
	.loc	1 41 49                         ; attention_bwd.py:41:49 @[ attention_bwd.py:200:26 ]
	v_lshl_add_u64 v[32:33], v[34:35], 1, v[32:33]
	.loc	1 48 21                         ; attention_bwd.py:48:21 @[ attention_bwd.py:200:26 ]
	global_load_ushort v45, v[32:33], off
	.loc	1 58 21                         ; attention_bwd.py:58:21 @[ attention_bwd.py:200:26 ]
	s_and_b64 vcc, exec, s[0:1]
	scratch_store_dwordx2 off, v[34:35], off offset:256 ; 8-byte Folded Spill
	s_cbranch_vccz .LBB0_34
.LBB0_25:
	.loc	1 0 21 is_stmt 0                ; attention_bwd.py:0:21
	v_mov_b32_e32 v46, 0
	.loc	1 58 21                         ; attention_bwd.py:58:21 @[ attention_bwd.py:200:26 ]
	s_and_b64 vcc, exec, s[0:1]
	s_cbranch_vccz .LBB0_35
.LBB0_26:
	.loc	1 0 21                          ; attention_bwd.py:0:21
	v_mov_b32_e32 v47, 0
	.loc	1 58 21                         ; attention_bwd.py:58:21 @[ attention_bwd.py:200:26 ]
	s_and_b64 vcc, exec, s[0:1]
	s_cbranch_vccz .LBB0_36
.LBB0_27:
	.loc	1 0 21                          ; attention_bwd.py:0:21
	v_mov_b32_e32 v48, 0
	.loc	1 58 21                         ; attention_bwd.py:58:21 @[ attention_bwd.py:200:26 ]
	s_and_b64 vcc, exec, s[0:1]
	s_cbranch_vccz .LBB0_37
.LBB0_28:
	.loc	1 0 21                          ; attention_bwd.py:0:21
	v_mov_b32_e32 v49, 0
	.loc	1 58 21                         ; attention_bwd.py:58:21 @[ attention_bwd.py:200:26 ]
	s_and_b64 vcc, exec, s[0:1]
	s_cbranch_vccz .LBB0_38
.LBB0_29:
	.loc	1 0 21                          ; attention_bwd.py:0:21
	v_mov_b32_e32 v50, 0
	.loc	1 58 21                         ; attention_bwd.py:58:21 @[ attention_bwd.py:200:26 ]
	s_and_b64 vcc, exec, s[0:1]
	s_cbranch_vccz .LBB0_39
.LBB0_30:
	.loc	1 0 21                          ; attention_bwd.py:0:21
	v_mov_b32_e32 v51, 0
	.loc	1 58 21                         ; attention_bwd.py:58:21 @[ attention_bwd.py:200:26 ]
	s_and_b64 vcc, exec, s[0:1]
	s_cbranch_vccz .LBB0_40
.LBB0_31:
	.loc	1 0 21                          ; attention_bwd.py:0:21
	v_mov_b32_e32 v52, 0
	.loc	1 58 21                         ; attention_bwd.py:58:21 @[ attention_bwd.py:200:26 ]
	s_and_b64 vcc, exec, s[0:1]
	s_cbranch_vccz .LBB0_41
.LBB0_32:
	.loc	1 0 21                          ; attention_bwd.py:0:21
	v_mov_b32_e32 v53, 0
	.loc	1 58 21                         ; attention_bwd.py:58:21 @[ attention_bwd.py:200:26 ]
	s_branch .LBB0_42
.LBB0_33:
	.loc	1 0 21                          ; attention_bwd.py:0:21
	v_mov_b32_e32 v45, 0
	.loc	1 58 21 is_stmt 1               ; attention_bwd.py:58:21 @[ attention_bwd.py:200:26 ]
	s_and_b64 vcc, exec, s[0:1]
	scratch_store_dwordx2 off, v[34:35], off offset:256 ; 8-byte Folded Spill
	s_cbranch_vccnz .LBB0_25
.LBB0_34:
	.loc	1 38 23                         ; attention_bwd.py:38:23 @[ attention_bwd.py:200:26 ]
	s_or_b32 s31, s94, s30
	.loc	1 42 37                         ; attention_bwd.py:42:37 @[ attention_bwd.py:200:26 ]
	s_mul_i32 s72, s31, s28
	.loc	1 42 19 is_stmt 0               ; attention_bwd.py:42:19 @[ attention_bwd.py:200:26 ]
	s_ashr_i32 s73, s72, 31
	s_lshl_b64 s[72:73], s[72:73], 1
	s_add_u32 s72, s33, s72
	s_addc_u32 s73, s80, s73
	.loc	1 42 50                         ; attention_bwd.py:42:50 @[ attention_bwd.py:200:26 ]
	v_lshl_add_u64 v[32:33], v[36:37], 1, s[72:73]
	.loc	1 58 21 is_stmt 1               ; attention_bwd.py:58:21 @[ attention_bwd.py:200:26 ]
	global_load_ushort v46, v[32:33], off
	s_and_b64 vcc, exec, s[0:1]
	s_cbranch_vccnz .LBB0_26
.LBB0_35:
	.loc	1 38 23                         ; attention_bwd.py:38:23 @[ attention_bwd.py:200:26 ]
	s_or_b32 s31, s93, s30
	.loc	1 42 37                         ; attention_bwd.py:42:37 @[ attention_bwd.py:200:26 ]
	s_mul_i32 s72, s31, s28
	.loc	1 42 19 is_stmt 0               ; attention_bwd.py:42:19 @[ attention_bwd.py:200:26 ]
	s_ashr_i32 s73, s72, 31
	s_lshl_b64 s[72:73], s[72:73], 1
	s_add_u32 s72, s33, s72
	s_addc_u32 s73, s80, s73
	.loc	1 42 50                         ; attention_bwd.py:42:50 @[ attention_bwd.py:200:26 ]
	v_lshl_add_u64 v[32:33], v[36:37], 1, s[72:73]
	.loc	1 58 21 is_stmt 1               ; attention_bwd.py:58:21 @[ attention_bwd.py:200:26 ]
	global_load_ushort v47, v[32:33], off
	s_and_b64 vcc, exec, s[0:1]
	s_cbranch_vccnz .LBB0_27
.LBB0_36:
	.loc	1 38 23                         ; attention_bwd.py:38:23 @[ attention_bwd.py:200:26 ]
	s_or_b32 s31, s92, s30
	.loc	1 42 37                         ; attention_bwd.py:42:37 @[ attention_bwd.py:200:26 ]
	s_mul_i32 s72, s31, s28
	.loc	1 42 19 is_stmt 0               ; attention_bwd.py:42:19 @[ attention_bwd.py:200:26 ]
	s_ashr_i32 s73, s72, 31
	s_lshl_b64 s[72:73], s[72:73], 1
	s_add_u32 s72, s33, s72
	s_addc_u32 s73, s80, s73
	.loc	1 42 50                         ; attention_bwd.py:42:50 @[ attention_bwd.py:200:26 ]
	v_lshl_add_u64 v[32:33], v[36:37], 1, s[72:73]
	.loc	1 58 21 is_stmt 1               ; attention_bwd.py:58:21 @[ attention_bwd.py:200:26 ]
	global_load_ushort v48, v[32:33], off
	s_and_b64 vcc, exec, s[0:1]
	s_cbranch_vccnz .LBB0_28
.LBB0_37:
	.loc	1 38 23                         ; attention_bwd.py:38:23 @[ attention_bwd.py:200:26 ]
	s_or_b32 s31, s91, s30
	.loc	1 42 37                         ; attention_bwd.py:42:37 @[ attention_bwd.py:200:26 ]
	s_mul_i32 s72, s31, s28
	.loc	1 42 19 is_stmt 0               ; attention_bwd.py:42:19 @[ attention_bwd.py:200:26 ]
	s_ashr_i32 s73, s72, 31
	s_lshl_b64 s[72:73], s[72:73], 1
	s_add_u32 s72, s33, s72
	s_addc_u32 s73, s80, s73
	.loc	1 42 50                         ; attention_bwd.py:42:50 @[ attention_bwd.py:200:26 ]
	v_lshl_add_u64 v[32:33], v[36:37], 1, s[72:73]
	.loc	1 58 21 is_stmt 1               ; attention_bwd.py:58:21 @[ attention_bwd.py:200:26 ]
	global_load_ushort v49, v[32:33], off
	s_and_b64 vcc, exec, s[0:1]
	s_cbranch_vccnz .LBB0_29
.LBB0_38:
	.loc	1 38 23                         ; attention_bwd.py:38:23 @[ attention_bwd.py:200:26 ]
	s_or_b32 s31, s90, s30
	.loc	1 42 37                         ; attention_bwd.py:42:37 @[ attention_bwd.py:200:26 ]
	s_mul_i32 s72, s31, s28
	.loc	1 42 19 is_stmt 0               ; attention_bwd.py:42:19 @[ attention_bwd.py:200:26 ]
	s_ashr_i32 s73, s72, 31
	s_lshl_b64 s[72:73], s[72:73], 1
	s_add_u32 s72, s33, s72
	s_addc_u32 s73, s80, s73
	.loc	1 42 50                         ; attention_bwd.py:42:50 @[ attention_bwd.py:200:26 ]
	v_lshl_add_u64 v[32:33], v[36:37], 1, s[72:73]
	.loc	1 58 21 is_stmt 1               ; attention_bwd.py:58:21 @[ attention_bwd.py:200:26 ]
	global_load_ushort v50, v[32:33], off
	s_and_b64 vcc, exec, s[0:1]
	s_cbranch_vccnz .LBB0_30
.LBB0_39:
	.loc	1 38 23                         ; attention_bwd.py:38:23 @[ attention_bwd.py:200:26 ]
	s_or_b32 s31, s89, s30
	.loc	1 42 37                         ; attention_bwd.py:42:37 @[ attention_bwd.py:200:26 ]
	s_mul_i32 s72, s31, s28
	.loc	1 42 19 is_stmt 0               ; attention_bwd.py:42:19 @[ attention_bwd.py:200:26 ]
	s_ashr_i32 s73, s72, 31
	s_lshl_b64 s[72:73], s[72:73], 1
	s_add_u32 s72, s33, s72
	s_addc_u32 s73, s80, s73
	.loc	1 42 50                         ; attention_bwd.py:42:50 @[ attention_bwd.py:200:26 ]
	v_lshl_add_u64 v[32:33], v[36:37], 1, s[72:73]
	.loc	1 58 21 is_stmt 1               ; attention_bwd.py:58:21 @[ attention_bwd.py:200:26 ]
	global_load_ushort v51, v[32:33], off
	s_and_b64 vcc, exec, s[0:1]
	s_cbranch_vccnz .LBB0_31
.LBB0_40:
	.loc	1 38 23                         ; attention_bwd.py:38:23 @[ attention_bwd.py:200:26 ]
	s_or_b32 s31, s88, s30
	.loc	1 42 37                         ; attention_bwd.py:42:37 @[ attention_bwd.py:200:26 ]
	s_mul_i32 s72, s31, s28
	.loc	1 42 19 is_stmt 0               ; attention_bwd.py:42:19 @[ attention_bwd.py:200:26 ]
	s_ashr_i32 s73, s72, 31
	s_lshl_b64 s[72:73], s[72:73], 1
	s_add_u32 s72, s33, s72
	s_addc_u32 s73, s80, s73
	.loc	1 42 50                         ; attention_bwd.py:42:50 @[ attention_bwd.py:200:26 ]
	v_lshl_add_u64 v[32:33], v[36:37], 1, s[72:73]
	.loc	1 58 21 is_stmt 1               ; attention_bwd.py:58:21 @[ attention_bwd.py:200:26 ]
	global_load_ushort v52, v[32:33], off
	s_and_b64 vcc, exec, s[0:1]
	s_cbranch_vccnz .LBB0_32
.LBB0_41:
	.loc	1 38 23                         ; attention_bwd.py:38:23 @[ attention_bwd.py:200:26 ]
	s_or_b32 s31, s87, s30
	.loc	1 42 37                         ; attention_bwd.py:42:37 @[ attention_bwd.py:200:26 ]
	s_mul_i32 s72, s31, s28
	.loc	1 42 19 is_stmt 0               ; attention_bwd.py:42:19 @[ attention_bwd.py:200:26 ]
	s_ashr_i32 s73, s72, 31
	s_lshl_b64 s[72:73], s[72:73], 1
	s_add_u32 s72, s33, s72
	s_addc_u32 s73, s80, s73
	.loc	1 42 50                         ; attention_bwd.py:42:50 @[ attention_bwd.py:200:26 ]
	v_lshl_add_u64 v[32:33], v[36:37], 1, s[72:73]
	.loc	1 58 21 is_stmt 1               ; attention_bwd.py:58:21 @[ attention_bwd.py:200:26 ]
	global_load_ushort v53, v[32:33], off
.LBB0_42:
	.loc	1 38 36                         ; attention_bwd.py:38:36 @[ attention_bwd.py:200:26 ]
	v_lshrrev_b32_e32 v138, 3, v122
	.loc	1 50 26                         ; attention_bwd.py:50:26 @[ attention_bwd.py:200:26 ]
	v_or_b32_e32 v32, s30, v138
	v_mov_b32_e32 v139, 0
	.loc	1 51 20                         ; attention_bwd.py:51:20 @[ attention_bwd.py:200:26 ]
	s_and_b64 vcc, exec, s[0:1]
	v_ashrrev_i32_e32 v33, 31, v32
	v_mov_b32_e32 v209, 0
	s_cbranch_vccnz .LBB0_44
; %bb.43:
	.loc	1 0 20 is_stmt 0                ; attention_bwd.py:0:20
	v_lshl_add_u64 v[34:35], v[32:33], 2, s[22:23]
	.loc	1 51 20                         ; attention_bwd.py:51:20 @[ attention_bwd.py:200:26 ]
	global_load_dword v209, v[34:35], off
.LBB0_44:
	.loc	1 51 24                         ; attention_bwd.py:51:24 @[ attention_bwd.py:200:26 ]
	s_ashr_i32 s31, s30, 31
	v_lshl_add_u64 v[34:35], v[138:139], 0, s[30:31]
	.loc	1 51 20                         ; attention_bwd.py:51:20 @[ attention_bwd.py:200:26 ]
	s_and_b64 vcc, exec, s[0:1]
	.loc	1 51 24                         ; attention_bwd.py:51:24 @[ attention_bwd.py:200:26 ]
	v_lshl_add_u64 v[36:37], v[34:35], 2, s[22:23]
	scratch_store_dwordx4 off, v[210:213], off offset:144 ; 16-byte Folded Spill
	.loc	1 51 20                         ; attention_bwd.py:51:20 @[ attention_bwd.py:200:26 ]
	s_cbranch_vccnz .LBB0_49
; %bb.45:
	global_load_dword v210, v[36:37], off offset:4
	s_and_b64 vcc, exec, s[0:1]
	s_cbranch_vccz .LBB0_50
.LBB0_46:
	.loc	1 0 20                          ; attention_bwd.py:0:20
	v_mov_b32_e32 v211, 0
	.loc	1 51 20                         ; attention_bwd.py:51:20 @[ attention_bwd.py:200:26 ]
	s_and_b64 vcc, exec, s[0:1]
	s_cbranch_vccz .LBB0_51
.LBB0_47:
	.loc	1 0 20                          ; attention_bwd.py:0:20
	v_mov_b32_e32 v212, 0
	.loc	1 51 20                         ; attention_bwd.py:51:20 @[ attention_bwd.py:200:26 ]
	s_and_b64 vcc, exec, s[0:1]
	s_cbranch_vccz .LBB0_52
.LBB0_48:
	.loc	1 0 20                          ; attention_bwd.py:0:20
	v_mov_b32_e32 v213, 0
	.loc	1 51 20                         ; attention_bwd.py:51:20 @[ attention_bwd.py:200:26 ]
	s_branch .LBB0_53
.LBB0_49:
	.loc	1 0 20                          ; attention_bwd.py:0:20
	s_nop 0
	v_mov_b32_e32 v210, 0
	.loc	1 51 20                         ; attention_bwd.py:51:20 @[ attention_bwd.py:200:26 ]
	s_and_b64 vcc, exec, s[0:1]
	s_cbranch_vccnz .LBB0_46
.LBB0_50:
	global_load_dword v211, v[36:37], off offset:8
	s_and_b64 vcc, exec, s[0:1]
	s_cbranch_vccnz .LBB0_47
.LBB0_51:
	global_load_dword v212, v[36:37], off offset:12
	s_and_b64 vcc, exec, s[0:1]
	s_cbranch_vccnz .LBB0_48
.LBB0_52:
	global_load_dword v213, v[36:37], off offset:32
.LBB0_53:
	s_and_b64 vcc, exec, s[0:1]
	scratch_store_dwordx4 off, v[214:217], off offset:272 ; 16-byte Folded Spill
	scratch_store_dwordx2 off, v[82:83], off offset:264 ; 8-byte Folded Spill
	scratch_store_dwordx4 off, v[104:107], off offset:160 ; 16-byte Folded Spill
	s_cbranch_vccnz .LBB0_58
; %bb.54:
	global_load_dword v214, v[36:37], off offset:36
	s_and_b64 vcc, exec, s[0:1]
	s_cbranch_vccz .LBB0_59
.LBB0_55:
	.loc	1 0 20                          ; attention_bwd.py:0:20
	v_mov_b32_e32 v215, 0
	.loc	1 51 20                         ; attention_bwd.py:51:20 @[ attention_bwd.py:200:26 ]
	s_and_b64 vcc, exec, s[0:1]
	s_cbranch_vccz .LBB0_60
.LBB0_56:
	.loc	1 0 20                          ; attention_bwd.py:0:20
	v_mov_b32_e32 v216, 0
	.loc	1 51 20                         ; attention_bwd.py:51:20 @[ attention_bwd.py:200:26 ]
	s_and_b64 vcc, exec, s[0:1]
	s_cbranch_vccz .LBB0_61
.LBB0_57:
	.loc	1 0 20                          ; attention_bwd.py:0:20
	v_mov_b32_e32 v217, 0
	.loc	1 51 20                         ; attention_bwd.py:51:20 @[ attention_bwd.py:200:26 ]
	s_branch .LBB0_62
.LBB0_58:
	.loc	1 0 20                          ; attention_bwd.py:0:20
	v_mov_b32_e32 v214, 0
	.loc	1 51 20                         ; attention_bwd.py:51:20 @[ attention_bwd.py:200:26 ]
	s_and_b64 vcc, exec, s[0:1]
	s_cbranch_vccnz .LBB0_55
.LBB0_59:
	global_load_dword v215, v[36:37], off offset:40
	s_and_b64 vcc, exec, s[0:1]
	s_cbranch_vccnz .LBB0_56
.LBB0_60:
	global_load_dword v216, v[36:37], off offset:44
	s_and_b64 vcc, exec, s[0:1]
	s_cbranch_vccnz .LBB0_57
.LBB0_61:
	global_load_dword v217, v[36:37], off offset:64
.LBB0_62:
	s_and_b64 vcc, exec, s[0:1]
	scratch_store_dwordx4 off, v[218:221], off offset:304 ; 16-byte Folded Spill
	scratch_store_dwordx2 off, v[84:85], off offset:296 ; 8-byte Folded Spill
	scratch_store_dwordx2 off, v[78:79], off offset:288 ; 8-byte Folded Spill
	s_cbranch_vccnz .LBB0_86
; %bb.63:
	global_load_dword v218, v[36:37], off offset:68
	s_and_b64 vcc, exec, s[0:1]
	s_cbranch_vccz .LBB0_87
.LBB0_64:
	.loc	1 0 20                          ; attention_bwd.py:0:20
	v_mov_b32_e32 v219, 0
	.loc	1 51 20                         ; attention_bwd.py:51:20 @[ attention_bwd.py:200:26 ]
	s_and_b64 vcc, exec, s[0:1]
	s_cbranch_vccz .LBB0_88
.LBB0_65:
	.loc	1 0 20                          ; attention_bwd.py:0:20
	v_mov_b32_e32 v220, 0
	.loc	1 51 20                         ; attention_bwd.py:51:20 @[ attention_bwd.py:200:26 ]
	s_and_b64 vcc, exec, s[0:1]
	s_cbranch_vccz .LBB0_89
.LBB0_66:
	.loc	1 0 20                          ; attention_bwd.py:0:20
	v_mov_b32_e32 v221, 0
	.loc	1 51 20                         ; attention_bwd.py:51:20 @[ attention_bwd.py:200:26 ]
	s_and_b64 vcc, exec, s[0:1]
	scratch_store_dwordx2 off, v[84:85], off offset:328 ; 8-byte Folded Spill
	scratch_store_dwordx2 off, v[88:89], off offset:320 ; 8-byte Folded Spill
	s_cbranch_vccz .LBB0_90
.LBB0_67:
	.loc	1 0 20                          ; attention_bwd.py:0:20
	v_mov_b32_e32 v222, 0
	.loc	1 51 20                         ; attention_bwd.py:51:20 @[ attention_bwd.py:200:26 ]
	s_and_b64 vcc, exec, s[0:1]
	s_cbranch_vccz .LBB0_91
.LBB0_68:
	.loc	1 0 20                          ; attention_bwd.py:0:20
	v_mov_b32_e32 v223, 0
	.loc	1 51 20                         ; attention_bwd.py:51:20 @[ attention_bwd.py:200:26 ]
	s_and_b64 vcc, exec, s[0:1]
	s_cbranch_vccz .LBB0_92
.LBB0_69:
	.loc	1 0 20                          ; attention_bwd.py:0:20
	v_mov_b32_e32 v224, 0
	.loc	1 64 21 is_stmt 1               ; attention_bwd.py:64:21 @[ attention_bwd.py:200:26 ]
	s_and_b64 vcc, exec, s[0:1]
	s_cbranch_vccz .LBB0_93
.LBB0_70:
	.loc	1 0 21 is_stmt 0                ; attention_bwd.py:0:21
	v_mov_b32_e32 v124, 0
	.loc	1 64 21                         ; attention_bwd.py:64:21 @[ attention_bwd.py:200:26 ]
	s_and_b64 vcc, exec, s[0:1]
	.loc	1 64 25                         ; attention_bwd.py:64:25 @[ attention_bwd.py:200:26 ]
	v_lshl_add_u64 v[32:33], v[34:35], 2, s[24:25]
	.loc	1 64 21                         ; attention_bwd.py:64:21 @[ attention_bwd.py:200:26 ]
	s_cbranch_vccz .LBB0_94
.LBB0_71:
	.loc	1 0 21                          ; attention_bwd.py:0:21
	v_mov_b32_e32 v125, 0
	.loc	1 64 21                         ; attention_bwd.py:64:21 @[ attention_bwd.py:200:26 ]
	s_and_b64 vcc, exec, s[0:1]
	s_cbranch_vccz .LBB0_95
.LBB0_72:
	.loc	1 0 21                          ; attention_bwd.py:0:21
	v_mov_b32_e32 v122, 0
	.loc	1 64 21                         ; attention_bwd.py:64:21 @[ attention_bwd.py:200:26 ]
	s_and_b64 vcc, exec, s[0:1]
	s_cbranch_vccz .LBB0_96
.LBB0_73:
	.loc	1 0 21                          ; attention_bwd.py:0:21
	v_mov_b32_e32 v123, 0
	.loc	1 64 21                         ; attention_bwd.py:64:21 @[ attention_bwd.py:200:26 ]
	s_and_b64 vcc, exec, s[0:1]
	s_cbranch_vccz .LBB0_97
.LBB0_74:
	.loc	1 0 21                          ; attention_bwd.py:0:21
	v_mov_b32_e32 v126, 0
	.loc	1 64 21                         ; attention_bwd.py:64:21 @[ attention_bwd.py:200:26 ]
	s_and_b64 vcc, exec, s[0:1]
	s_cbranch_vccz .LBB0_98
.LBB0_75:
	.loc	1 0 21                          ; attention_bwd.py:0:21
	v_mov_b32_e32 v127, 0
	.loc	1 64 21                         ; attention_bwd.py:64:21 @[ attention_bwd.py:200:26 ]
	s_and_b64 vcc, exec, s[0:1]
	s_cbranch_vccz .LBB0_99
.LBB0_76:
	.loc	1 0 21                          ; attention_bwd.py:0:21
	v_mov_b32_e32 v128, 0
	.loc	1 64 21                         ; attention_bwd.py:64:21 @[ attention_bwd.py:200:26 ]
	s_and_b64 vcc, exec, s[0:1]
	s_cbranch_vccz .LBB0_100
.LBB0_77:
	.loc	1 0 21                          ; attention_bwd.py:0:21
	v_mov_b32_e32 v129, 0
	.loc	1 64 21                         ; attention_bwd.py:64:21 @[ attention_bwd.py:200:26 ]
	s_and_b64 vcc, exec, s[0:1]
	s_cbranch_vccz .LBB0_101
.LBB0_78:
	.loc	1 0 21                          ; attention_bwd.py:0:21
	v_mov_b32_e32 v130, 0
	.loc	1 64 21                         ; attention_bwd.py:64:21 @[ attention_bwd.py:200:26 ]
	s_and_b64 vcc, exec, s[0:1]
	s_cbranch_vccz .LBB0_102
.LBB0_79:
	.loc	1 0 21                          ; attention_bwd.py:0:21
	v_mov_b32_e32 v131, 0
	.loc	1 64 21                         ; attention_bwd.py:64:21 @[ attention_bwd.py:200:26 ]
	s_and_b64 vcc, exec, s[0:1]
	s_cbranch_vccz .LBB0_103
.LBB0_80:
	.loc	1 0 21                          ; attention_bwd.py:0:21
	v_mov_b32_e32 v132, 0
	.loc	1 64 21                         ; attention_bwd.py:64:21 @[ attention_bwd.py:200:26 ]
	s_and_b64 vcc, exec, s[0:1]
	s_cbranch_vccz .LBB0_104
.LBB0_81:
	.loc	1 0 21                          ; attention_bwd.py:0:21
	v_mov_b32_e32 v133, 0
	.loc	1 64 21                         ; attention_bwd.py:64:21 @[ attention_bwd.py:200:26 ]
	s_and_b64 vcc, exec, s[0:1]
	s_cbranch_vccz .LBB0_105
.LBB0_82:
	.loc	1 0 21                          ; attention_bwd.py:0:21
	v_mov_b32_e32 v134, 0
	.loc	1 64 21                         ; attention_bwd.py:64:21 @[ attention_bwd.py:200:26 ]
	s_and_b64 vcc, exec, s[0:1]
	s_cbranch_vccz .LBB0_106
.LBB0_83:
	.loc	1 0 21                          ; attention_bwd.py:0:21
	v_mov_b32_e32 v135, 0
	.loc	1 64 21                         ; attention_bwd.py:64:21 @[ attention_bwd.py:200:26 ]
	s_and_b64 vcc, exec, s[0:1]
	s_cbranch_vccz .LBB0_107
.LBB0_84:
	.loc	1 0 21                          ; attention_bwd.py:0:21
	v_mov_b32_e32 v136, 0
	.loc	1 64 21                         ; attention_bwd.py:64:21 @[ attention_bwd.py:200:26 ]
	s_and_b64 vcc, exec, s[0:1]
	s_cbranch_vccz .LBB0_108
.LBB0_85:
	.loc	1 0 21                          ; attention_bwd.py:0:21
	v_mov_b32_e32 v137, 0
	.loc	1 64 21                         ; attention_bwd.py:64:21 @[ attention_bwd.py:200:26 ]
	s_branch .LBB0_109
.LBB0_86:
	.loc	1 0 21                          ; attention_bwd.py:0:21
	v_mov_b32_e32 v218, 0
	.loc	1 51 20 is_stmt 1               ; attention_bwd.py:51:20 @[ attention_bwd.py:200:26 ]
	s_and_b64 vcc, exec, s[0:1]
	s_cbranch_vccnz .LBB0_64
.LBB0_87:
	global_load_dword v219, v[36:37], off offset:72
	s_and_b64 vcc, exec, s[0:1]
	s_cbranch_vccnz .LBB0_65
.LBB0_88:
	global_load_dword v220, v[36:37], off offset:76
	s_and_b64 vcc, exec, s[0:1]
	s_cbranch_vccnz .LBB0_66
.LBB0_89:
	global_load_dword v221, v[36:37], off offset:96
	s_and_b64 vcc, exec, s[0:1]
	scratch_store_dwordx2 off, v[84:85], off offset:328 ; 8-byte Folded Spill
	scratch_store_dwordx2 off, v[88:89], off offset:320 ; 8-byte Folded Spill
	s_cbranch_vccnz .LBB0_67
.LBB0_90:
	global_load_dword v222, v[36:37], off offset:100
	s_and_b64 vcc, exec, s[0:1]
	s_cbranch_vccnz .LBB0_68
.LBB0_91:
	global_load_dword v223, v[36:37], off offset:104
	s_and_b64 vcc, exec, s[0:1]
	s_cbranch_vccnz .LBB0_69
.LBB0_92:
	global_load_dword v224, v[36:37], off offset:108
	.loc	1 64 21                         ; attention_bwd.py:64:21 @[ attention_bwd.py:200:26 ]
	s_and_b64 vcc, exec, s[0:1]
	s_cbranch_vccnz .LBB0_70
.LBB0_93:
	.loc	1 0 21 is_stmt 0                ; attention_bwd.py:0:21
	v_lshl_add_u64 v[32:33], v[32:33], 2, s[24:25]
	.loc	1 64 21                         ; attention_bwd.py:64:21 @[ attention_bwd.py:200:26 ]
	global_load_dword v124, v[32:33], off
	s_and_b64 vcc, exec, s[0:1]
	.loc	1 64 25                         ; attention_bwd.py:64:25 @[ attention_bwd.py:200:26 ]
	v_lshl_add_u64 v[32:33], v[34:35], 2, s[24:25]
	.loc	1 64 21                         ; attention_bwd.py:64:21 @[ attention_bwd.py:200:26 ]
	s_cbranch_vccnz .LBB0_71
.LBB0_94:
	global_load_dword v125, v[32:33], off offset:4
	s_and_b64 vcc, exec, s[0:1]
	s_cbranch_vccnz .LBB0_72
.LBB0_95:
	global_load_dword v122, v[32:33], off offset:8
	s_and_b64 vcc, exec, s[0:1]
	s_cbranch_vccnz .LBB0_73
.LBB0_96:
	global_load_dword v123, v[32:33], off offset:12
	s_and_b64 vcc, exec, s[0:1]
	s_cbranch_vccnz .LBB0_74
.LBB0_97:
	global_load_dword v126, v[32:33], off offset:32
	s_and_b64 vcc, exec, s[0:1]
	s_cbranch_vccnz .LBB0_75
.LBB0_98:
	global_load_dword v127, v[32:33], off offset:36
	s_and_b64 vcc, exec, s[0:1]
	s_cbranch_vccnz .LBB0_76
.LBB0_99:
	global_load_dword v128, v[32:33], off offset:40
	s_and_b64 vcc, exec, s[0:1]
	s_cbranch_vccnz .LBB0_77
.LBB0_100:
	global_load_dword v129, v[32:33], off offset:44
	s_and_b64 vcc, exec, s[0:1]
	s_cbranch_vccnz .LBB0_78
.LBB0_101:
	global_load_dword v130, v[32:33], off offset:64
	s_and_b64 vcc, exec, s[0:1]
	s_cbranch_vccnz .LBB0_79
.LBB0_102:
	global_load_dword v131, v[32:33], off offset:68
	s_and_b64 vcc, exec, s[0:1]
	s_cbranch_vccnz .LBB0_80
.LBB0_103:
	global_load_dword v132, v[32:33], off offset:72
	s_and_b64 vcc, exec, s[0:1]
	s_cbranch_vccnz .LBB0_81
.LBB0_104:
	global_load_dword v133, v[32:33], off offset:76
	s_and_b64 vcc, exec, s[0:1]
	s_cbranch_vccnz .LBB0_82
.LBB0_105:
	global_load_dword v134, v[32:33], off offset:96
	s_and_b64 vcc, exec, s[0:1]
	s_cbranch_vccnz .LBB0_83
.LBB0_106:
	global_load_dword v135, v[32:33], off offset:100
	s_and_b64 vcc, exec, s[0:1]
	s_cbranch_vccnz .LBB0_84
.LBB0_107:
	global_load_dword v136, v[32:33], off offset:104
	s_and_b64 vcc, exec, s[0:1]
	s_cbranch_vccnz .LBB0_85
.LBB0_108:
	global_load_dword v137, v[32:33], off offset:108
.LBB0_109:
	.loc	1 47 25 is_stmt 1               ; attention_bwd.py:47:25 @[ attention_bwd.py:200:26 ]
	s_cmp_gt_i32 s74, 63
	v_lshlrev_b32_e32 v34, 6, v183
	v_lshlrev_b32_e32 v33, 4, v76
	.loc	1 48 21                         ; attention_bwd.py:48:21 @[ attention_bwd.py:200:26 ]
	s_waitcnt vmcnt(16)
	ds_write_b16 v176, v38
	s_waitcnt vmcnt(14)
	ds_write_b16 v176, v39 offset:1024
	s_waitcnt vmcnt(13)
	ds_write_b16 v176, v40 offset:2048
	ds_write_b16 v176, v41 offset:3072
	s_waitcnt vmcnt(12)
	ds_write_b16 v176, v42 offset:4096
	s_waitcnt vmcnt(11)
	ds_write_b16 v176, v43 offset:5120
	s_waitcnt vmcnt(10)
	ds_write_b16 v176, v44 offset:6144
	ds_write_b16 v176, v45 offset:7168
	.loc	1 58 21                         ; attention_bwd.py:58:21 @[ attention_bwd.py:200:26 ]
	s_waitcnt lgkmcnt(0)
	s_barrier
	s_waitcnt vmcnt(9)
	ds_write_b16 v176, v46 offset:8192
	ds_write_b16 v176, v50 offset:12288
	;; [unrolled: 1-line block ×8, first 2 shown]
	.loc	1 47 25                         ; attention_bwd.py:47:25 @[ attention_bwd.py:200:26 ]
	s_cbranch_scc1 .LBB0_111
; %bb.110:                              ; %.._crit_edge_crit_edge
	.loc	1 48 21                         ; attention_bwd.py:48:21 @[ attention_bwd.py:200:26 ]
	v_mov_b32_e32 v32, 0x220
	v_cndmask_b32_e64 v32, v32, 0, s[16:17]
	v_bitop3_b32 v32, v32, v33, v75 bitop3:0xde
	s_movk_i32 s30, 0x110
	.loc	1 69 26                         ; attention_bwd.py:69:26 @[ attention_bwd.py:200:26 ]
	v_lshl_or_b32 v36, s86, 5, v34
	.loc	1 48 21                         ; attention_bwd.py:48:21 @[ attention_bwd.py:200:26 ]
	v_or_b32_e32 v52, v32, v74
	v_bitop3_b32 v32, v32, s30, v74 bitop3:0x36
	s_mov_b64 s[72:73], 0
	s_branch .LBB0_112
.LBB0_111:
	.loc	1 0 21 is_stmt 0                ; attention_bwd.py:0:21
	s_mov_b64 s[72:73], -1
                                        ; implicit-def: $vgpr36
                                        ; implicit-def: $vgpr52
                                        ; implicit-def: $vgpr32
.LBB0_112:                              ; %Flow1323
	v_or_b32_e32 v83, v187, v78
	v_add_u32_e32 v35, s85, v140
	s_lshl_b32 s30, s28, 5
	s_andn2_b64 vcc, exec, s[72:73]
	v_lshlrev_b32_e32 v79, 1, v183
	v_lshrrev_b32_e32 v188, 5, v35
	v_add_u32_e32 v172, 0, v83
	s_cbranch_vccnz .LBB0_116
; %bb.113:                              ; %.lr.ph
	.loc	1 47 25 is_stmt 1               ; attention_bwd.py:47:25 @[ attention_bwd.py:200:26 ]
	v_or_b32_e32 v32, v249, v229
	v_lshl_or_b32 v34, s86, 5, v34
.Ltmp88:
	.loc	1 191 37                        ; attention_bwd.py:191:37
	s_ashr_i32 s31, s74, 31
	v_or_b32_e32 v36, v34, v32
	v_bitop3_b32 v37, v34, 16, v32 bitop3:0x36
	v_bitop3_b32 v38, v34, 32, v32 bitop3:0x36
	;; [unrolled: 1-line block ×3, first 2 shown]
	v_mov_b32_e32 v32, 0x220
	s_lshr_b32 s31, s31, 27
	v_cndmask_b32_e64 v32, v32, 0, s[16:17]
	s_movk_i32 s16, 0x60
	s_add_i32 s74, s74, s31
	v_bitop3_b32 v43, v187, s16, v78 bitop3:0x36
	s_movk_i32 s16, 0x80
	s_ashr_i32 s72, s74, 5
	v_bitop3_b32 v44, v187, s16, v78 bitop3:0x36
	s_movk_i32 s16, 0xa0
	v_bitop3_b32 v45, v187, s16, v78 bitop3:0x36
	s_movk_i32 s16, 0xc0
.Ltmp89:
	.loc	1 47 25                         ; attention_bwd.py:47:25 @[ attention_bwd.py:200:26 ]
	s_max_i32 s17, s72, 2
	s_add_i32 s72, s84, 0x5c
	v_bitop3_b32 v32, v32, v33, v75 bitop3:0xde
	v_bitop3_b32 v46, v187, s16, v78 bitop3:0x36
	s_movk_i32 s16, 0xe0
	s_mul_i32 s72, s28, s72
	scratch_store_dword off, v83, off offset:556 ; 4-byte Folded Spill
	scratch_store_dwordx2 off, v[82:83], off offset:528 ; 8-byte Folded Spill
	scratch_store_dwordx2 off, v[254:255], off offset:512 ; 8-byte Folded Spill
	;; [unrolled: 1-line block ×5, first 2 shown]
	scratch_store_dword off, v248, off offset:480 ; 4-byte Folded Spill
	scratch_store_dword off, v247, off offset:476 ; 4-byte Folded Spill
	;; [unrolled: 1-line block ×13, first 2 shown]
	scratch_store_dwordx2 off, v[238:239], off offset:424 ; 8-byte Folded Spill
	scratch_store_dwordx2 off, v[164:165], off offset:416 ; 8-byte Folded Spill
	;; [unrolled: 1-line block ×9, first 2 shown]
	s_ashr_i32 s31, s30, 31
	v_or_b32_e32 v52, v32, v74
	v_bitop3_b32 v40, v32, 16, v74 bitop3:0x36
	v_bitop3_b32 v41, v187, 32, v78 bitop3:0x36
	;; [unrolled: 1-line block ×3, first 2 shown]
	scratch_store_dword off, v187, off offset:536 ; 4-byte Folded Spill
	v_bitop3_b32 v47, v187, s16, v78 bitop3:0x36
	v_xor_b32_e32 v32, v186, v79
	scratch_store_dword off, v186, off offset:540 ; 4-byte Folded Spill
	scratch_store_dword off, v79, off offset:552 ; 4-byte Folded Spill
	v_bitop3_b32 v48, s82, v186, v79 bitop3:0xf6
	s_ashr_i32 s73, s72, 31
	scratch_load_dwordx4 v[230:233], off, off offset:272 ; 16-byte Folded Reload
	scratch_load_dwordx4 v[236:239], off, off offset:304 ; 16-byte Folded Reload
	;; [unrolled: 1-line block ×4, first 2 shown]
	s_add_i32 s16, s9, 0x60
	s_lshl_b64 s[74:75], s[72:73], 1
	s_lshl_b64 s[72:73], s[30:31], 1
	s_add_u32 s31, s10, s72
	s_addc_u32 s76, s11, s73
	s_add_u32 s10, s31, s74
	s_addc_u32 s11, s76, s75
	v_lshl_add_u64 v[140:141], s[10:11], 0, v[80:81]
	s_add_i32 s10, s84, 0x58
	s_mul_i32 s10, s28, s10
	s_ashr_i32 s11, s10, 31
	s_lshl_b64 s[10:11], s[10:11], 1
	s_add_u32 s10, s31, s10
	s_addc_u32 s11, s76, s11
	v_lshl_add_u64 v[142:143], s[10:11], 0, v[80:81]
	s_add_i32 s10, s84, 0x54
	s_mul_i32 s10, s28, s10
	s_ashr_i32 s11, s10, 31
	s_lshl_b64 s[10:11], s[10:11], 1
	;; [unrolled: 7-line block ×6, first 2 shown]
	s_add_u32 s10, s31, s10
	s_addc_u32 s11, s76, s11
	s_add_i32 s84, s84, 64
	v_lshl_add_u64 v[152:153], s[10:11], 0, v[80:81]
	s_mul_i32 s10, s28, s84
	s_ashr_i32 s11, s10, 31
	v_bitop3_b32 v49, s82, 8, v32 bitop3:0x36
	v_bitop3_b32 v50, s82, 32, v32 bitop3:0x36
	v_bitop3_b32 v51, s82, 40, v32 bitop3:0x36
	s_lshl_b64 s[10:11], s[10:11], 1
	v_add3_u32 v32, s9, v183, 64
	scratch_store_dword off, v34, off offset:560 ; 4-byte Folded Spill
	s_add_u32 s10, s31, s10
	v_mul_lo_u32 v32, s28, v32
	v_add_u32_e32 v34, 0x70, v188
	s_addc_u32 s11, s76, s11
	v_ashrrev_i32_e32 v33, 31, v32
	v_mul_lo_u32 v34, s29, v34
	v_lshlrev_b64 v[32:33], 1, v[32:33]
	v_ashrrev_i32_e32 v35, 31, v34
	s_add_u32 s2, s2, s72
	v_lshl_add_u64 v[34:35], v[34:35], 1, v[32:33]
	s_addc_u32 s3, s3, s73
	v_lshl_add_u64 v[156:157], s[2:3], 0, v[34:35]
	v_or_b32_e32 v34, 0x60, v188
	v_mul_lo_u32 v34, s29, v34
	v_ashrrev_i32_e32 v35, 31, v34
	v_lshl_add_u64 v[34:35], v[34:35], 1, v[32:33]
	v_lshl_add_u64 v[158:159], s[2:3], 0, v[34:35]
	v_add_u32_e32 v34, 0x50, v188
	v_mul_lo_u32 v34, s29, v34
	v_ashrrev_i32_e32 v35, 31, v34
	v_lshl_add_u64 v[34:35], v[34:35], 1, v[32:33]
	v_lshl_add_u64 v[160:161], s[2:3], 0, v[34:35]
	v_or_b32_e32 v34, 64, v188
	v_mul_lo_u32 v34, s29, v34
	v_ashrrev_i32_e32 v35, 31, v34
	v_lshl_add_u64 v[34:35], v[34:35], 1, v[32:33]
	v_lshl_add_u64 v[162:163], s[2:3], 0, v[34:35]
	v_add_u32_e32 v34, 48, v188
	v_mul_lo_u32 v34, s29, v34
	v_ashrrev_i32_e32 v35, 31, v34
	v_lshl_add_u64 v[34:35], v[34:35], 1, v[32:33]
	;; [unrolled: 10-line block ×3, first 2 shown]
	v_lshl_add_u64 v[168:169], s[2:3], 0, v[34:35]
	v_mul_lo_u32 v34, s29, v188
	v_ashrrev_i32_e32 v35, 31, v34
	v_lshl_add_u64 v[32:33], v[34:35], 1, v[32:33]
	v_lshl_add_u64 v[170:171], s[2:3], 0, v[32:33]
	v_add_u32_e32 v32, 0, v36
	scratch_store_dword off, v32, off offset:196 ; 4-byte Folded Spill
	v_add_u32_e32 v32, 0, v37
	scratch_store_dword off, v32, off offset:200 ; 4-byte Folded Spill
	;; [unrolled: 2-line block ×5, first 2 shown]
	scratch_store_dword off, v229, off offset:544 ; 4-byte Folded Spill
	v_lshl_add_u64 v[154:155], s[10:11], 0, v[80:81]
	s_add_i32 s2, s17, -1
	v_add_u32_e32 v234, 0, v40
	scratch_store_dword off, v32, off offset:204 ; 4-byte Folded Spill
	v_add_u32_e32 v32, 0, v42
	v_add_u32_e32 v229, 0, v43
	;; [unrolled: 1-line block ×10, first 2 shown]
	scratch_store_dwordx2 off, v[80:81], off offset:520 ; 8-byte Folded Spill
	scratch_store_dword off, v183, off offset:356 ; 4-byte Folded Spill
	scratch_store_dword off, v188, off offset:548 ; 4-byte Folded Spill
	scratch_store_dwordx4 off, v[202:205], off offset:176 ; 16-byte Folded Spill
	scratch_store_dword off, v32, off offset:212 ; 4-byte Folded Spill
.LBB0_114:                              ; =>This Inner Loop Header: Depth=1
	.loc	1 72 19                         ; attention_bwd.py:72:19 @[ attention_bwd.py:200:26 ]
	v_lshl_add_u64 v[32:33], v[170:171], 0, s[18:19]
	v_lshl_add_u64 v[34:35], v[168:169], 0, s[18:19]
	v_lshl_add_u64 v[36:37], v[166:167], 0, s[18:19]
	v_lshl_add_u64 v[38:39], v[164:165], 0, s[18:19]
	v_lshl_add_u64 v[40:41], v[162:163], 0, s[18:19]
	v_lshl_add_u64 v[42:43], v[160:161], 0, s[18:19]
	v_lshl_add_u64 v[44:45], v[158:159], 0, s[18:19]
	.loc	1 73 19                         ; attention_bwd.py:73:19 @[ attention_bwd.py:200:26 ]
	v_lshl_add_u64 v[46:47], v[156:157], 0, s[18:19]
	.loc	1 48 21                         ; attention_bwd.py:48:21 @[ attention_bwd.py:200:26 ]
	global_load_ushort v198, v[32:33], off
	global_load_ushort v199, v[34:35], off
	;; [unrolled: 1-line block ×8, first 2 shown]
	.loc	1 69 26                         ; attention_bwd.py:69:26 @[ attention_bwd.py:200:26 ]
	s_waitcnt lgkmcnt(0)
	s_barrier
	.loc	1 52 24                         ; attention_bwd.py:52:24 @[ attention_bwd.py:200:26 ]
	scratch_load_dwordx4 v[62:65], off, off offset:80 ; 16-byte Folded Reload
	.loc	1 48 21                         ; attention_bwd.py:48:21 @[ attention_bwd.py:200:26 ]
	v_add_u32_e32 v48, 0, v52
	ds_read_b64_tr_b16 v[50:51], v48
	v_mov_b32_e32 v84, v52
	ds_read_b64_tr_b16 v[52:53], v234 offset:256
	ds_read_b64_tr_b16 v[56:57], v234 offset:1280
	;; [unrolled: 1-line block ×3, first 2 shown]
	.loc	1 52 24                         ; attention_bwd.py:52:24 @[ attention_bwd.py:200:26 ]
	s_waitcnt vmcnt(10) lgkmcnt(2)
	v_mfma_f32_32x32x16_f16 v[32:47], v[50:53], v[112:115], 0
	.loc	1 48 21                         ; attention_bwd.py:48:21 @[ attention_bwd.py:200:26 ]
	ds_read_b64_tr_b16 v[50:51], v48 offset:2048
	ds_read_b64_tr_b16 v[52:53], v234 offset:2304
	;; [unrolled: 1-line block ×12, first 2 shown]
	.loc	1 51 24                         ; attention_bwd.py:51:24 @[ attention_bwd.py:200:26 ]
	v_add_u32_e32 v48, s16, v138
	s_ashr_i32 s17, s16, 31
	v_ashrrev_i32_e32 v49, 31, v48
	v_lshlrev_b64 v[48:49], 2, v[48:49]
	.loc	1 73 19                         ; attention_bwd.py:73:19 @[ attention_bwd.py:200:26 ]
	v_lshl_add_u64 v[90:91], v[142:143], 0, s[18:19]
	.loc	1 48 21                         ; attention_bwd.py:48:21 @[ attention_bwd.py:200:26 ]
	v_lshl_add_u64 v[92:93], v[140:141], 0, s[18:19]
	v_mov_b32_e32 v79, v172
	.loc	1 64 25                         ; attention_bwd.py:64:25 @[ attention_bwd.py:200:26 ]
	v_lshl_add_u64 v[174:175], s[24:25], 0, v[48:49]
	.loc	1 47 25                         ; attention_bwd.py:47:25 @[ attention_bwd.py:200:26 ]
	s_add_i32 s2, s2, -1
	v_lshl_add_u64 v[140:141], v[140:141], 0, s[72:73]
	v_lshl_add_u64 v[142:143], v[142:143], 0, s[72:73]
	;; [unrolled: 1-line block ×10, first 2 shown]
	.loc	1 52 24                         ; attention_bwd.py:52:24 @[ attention_bwd.py:200:26 ]
	s_waitcnt vmcnt(0) lgkmcnt(12)
	v_mfma_f32_32x32x16_f16 v[32:47], v[54:57], v[62:65], v[32:47]
	scratch_load_dwordx4 v[54:57], off, off offset:96 ; 16-byte Folded Reload
	.loc	1 51 24                         ; attention_bwd.py:51:24 @[ attention_bwd.py:200:26 ]
	v_lshl_add_u64 v[64:65], s[22:23], 0, v[48:49]
	.loc	1 73 19                         ; attention_bwd.py:73:19 @[ attention_bwd.py:200:26 ]
	v_lshl_add_u64 v[62:63], v[144:145], 0, s[18:19]
	.loc	1 58 21                         ; attention_bwd.py:58:21 @[ attention_bwd.py:200:26 ]
	global_load_ushort v247, v[62:63], off
	global_load_ushort v201, v[90:91], off
	;; [unrolled: 1-line block ×3, first 2 shown]
	.loc	1 47 25                         ; attention_bwd.py:47:25 @[ attention_bwd.py:200:26 ]
	v_lshl_add_u64 v[144:145], v[144:145], 0, s[72:73]
	.loc	1 52 24                         ; attention_bwd.py:52:24 @[ attention_bwd.py:200:26 ]
	s_waitcnt vmcnt(3) lgkmcnt(10)
	v_mfma_f32_32x32x16_f16 v[32:47], v[50:53], v[54:57], v[32:47]
	v_lshl_add_u64 v[50:51], s[16:17], 0, v[138:139]
	.loc	1 51 24                         ; attention_bwd.py:51:24 @[ attention_bwd.py:200:26 ]
	v_lshlrev_b64 v[50:51], 2, v[50:51]
	v_lshl_add_u64 v[72:73], s[22:23], 0, v[50:51]
	.loc	1 73 19                         ; attention_bwd.py:73:19 @[ attention_bwd.py:200:26 ]
	v_lshl_add_u64 v[52:53], v[154:155], 0, s[18:19]
	v_lshl_add_u64 v[54:55], v[152:153], 0, s[18:19]
	;; [unrolled: 1-line block ×3, first 2 shown]
	.loc	1 47 25                         ; attention_bwd.py:47:25 @[ attention_bwd.py:200:26 ]
	s_add_i32 s16, s16, 32
	.loc	1 52 24                         ; attention_bwd.py:52:24 @[ attention_bwd.py:200:26 ]
	s_waitcnt lgkmcnt(8)
	v_mfma_f32_32x32x16_f16 v[32:47], v[58:61], v[108:111], v[32:47]
	.loc	1 73 19                         ; attention_bwd.py:73:19 @[ attention_bwd.py:200:26 ]
	v_lshl_add_u64 v[58:59], v[148:149], 0, s[18:19]
	v_lshl_add_u64 v[60:61], v[146:147], 0, s[18:19]
	.loc	1 47 25                         ; attention_bwd.py:47:25 @[ attention_bwd.py:200:26 ]
	s_cmp_lg_u32 s2, 0
	v_lshl_add_u64 v[146:147], v[146:147], 0, s[72:73]
	v_lshl_add_u64 v[148:149], v[148:149], 0, s[72:73]
	;; [unrolled: 1-line block ×4, first 2 shown]
	.loc	1 52 24                         ; attention_bwd.py:52:24 @[ attention_bwd.py:200:26 ]
	s_waitcnt lgkmcnt(6)
	v_mfma_f32_32x32x16_f16 v[32:47], v[66:69], v[104:107], v[32:47]
	.loc	1 69 26                         ; attention_bwd.py:69:26 @[ attention_bwd.py:200:26 ]
	scratch_load_dword v66, off, off offset:196 ; 4-byte Folded Reload
	.loc	1 47 25                         ; attention_bwd.py:47:25 @[ attention_bwd.py:200:26 ]
	v_lshl_add_u64 v[154:155], v[154:155], 0, s[72:73]
	.loc	1 69 26                         ; attention_bwd.py:69:26 @[ attention_bwd.py:200:26 ]
	s_waitcnt vmcnt(0)
	ds_read_b64 v[112:113], v66
	scratch_load_dword v66, off, off offset:200 ; 4-byte Folded Reload
	s_waitcnt vmcnt(0)
	ds_read_b64 v[114:115], v66
	scratch_load_dword v66, off, off offset:192 ; 4-byte Folded Reload
	;; [unrolled: 3-line block ×3, first 2 shown]
	s_waitcnt vmcnt(0)
	ds_read_b64 v[110:111], v66
	.loc	1 51 20                         ; attention_bwd.py:51:20 @[ attention_bwd.py:200:26 ]
	global_load_dword v246, v[64:65], off
	global_load_dwordx3 v[76:78], v[72:73], off offset:4
	s_nop 0
	global_load_dwordx4 v[64:67], v[72:73], off offset:32
	.loc	1 52 24                         ; attention_bwd.py:52:24 @[ attention_bwd.py:200:26 ]
	scratch_load_dwordx4 v[68:71], off, off offset:32 ; 16-byte Folded Reload
	s_waitcnt vmcnt(0) lgkmcnt(8)
	v_mfma_f32_32x32x16_f16 v[32:47], v[94:97], v[68:71], v[32:47]
	.loc	1 51 20                         ; attention_bwd.py:51:20 @[ attention_bwd.py:200:26 ]
	global_load_dwordx4 v[68:71], v[72:73], off offset:64
	s_nop 0
	global_load_dwordx4 v[72:75], v[72:73], off offset:96
	.loc	1 58 21                         ; attention_bwd.py:58:21 @[ attention_bwd.py:200:26 ]
	s_nop 0
	global_load_ushort v188, v[52:53], off
	global_load_ushort v227, v[54:55], off
	;; [unrolled: 1-line block ×5, first 2 shown]
	.loc	1 52 24                         ; attention_bwd.py:52:24 @[ attention_bwd.py:200:26 ]
	s_nop 0
	scratch_load_dwordx4 v[52:55], off, off offset:64 ; 16-byte Folded Reload
	.loc	1 66 24                         ; attention_bwd.py:66:24 @[ attention_bwd.py:200:26 ]
	s_waitcnt lgkmcnt(0)
	s_barrier
	ds_read_b128 v[94:97], v229 offset:8192
	ds_read_b128 v[202:205], v85 offset:8192
	;; [unrolled: 1-line block ×3, first 2 shown]
	scratch_load_dwordx4 v[80:83], off, off offset:16 ; 16-byte Folded Reload
	ds_read_b128 v[252:255], v241 offset:8192
	.loc	1 52 24                         ; attention_bwd.py:52:24 @[ attention_bwd.py:200:26 ]
	s_waitcnt vmcnt(1)
	v_mfma_f32_32x32x16_f16 v[32:47], v[98:101], v[52:55], v[32:47]
	.loc	1 66 24                         ; attention_bwd.py:66:24 @[ attention_bwd.py:200:26 ]
	scratch_load_dword v52, off, off offset:204 ; 4-byte Folded Reload
	ds_read_b128 v[98:101], v172 offset:8192
	s_waitcnt vmcnt(0)
	ds_read_b128 v[194:197], v52 offset:8192
	.loc	1 52 24                         ; attention_bwd.py:52:24 @[ attention_bwd.py:200:26 ]
	scratch_load_dwordx4 v[52:55], off, off offset:48 ; 16-byte Folded Reload
	s_waitcnt vmcnt(0)
	v_mfma_f32_32x32x16_f16 v[32:47], v[116:119], v[52:55], v[32:47]
	.loc	1 66 24                         ; attention_bwd.py:66:24 @[ attention_bwd.py:200:26 ]
	scratch_load_dword v52, off, off offset:212 ; 4-byte Folded Reload
	.loc	1 64 25                         ; attention_bwd.py:64:25 @[ attention_bwd.py:200:26 ]
	v_lshl_add_u64 v[172:173], s[24:25], 0, v[50:51]
	.loc	1 53 32                         ; attention_bwd.py:53:32 @[ attention_bwd.py:200:26 ]
	s_nop 9
	v_sub_f32_e32 v32, v32, v209
	v_sub_f32_e32 v33, v33, v210
	.loc	1 53 26 is_stmt 0               ; attention_bwd.py:53:26 @[ attention_bwd.py:200:26 ]
	v_exp_f32_e32 v32, v32
	v_exp_f32_e32 v33, v33
	.loc	1 53 32                         ; attention_bwd.py:53:32 @[ attention_bwd.py:200:26 ]
	v_sub_f32_e32 v40, v40, v217
	v_sub_f32_e32 v41, v41, v218
	v_sub_f32_e32 v34, v34, v211
	v_sub_f32_e32 v35, v35, v212
	v_sub_f32_e32 v36, v36, v213
	v_sub_f32_e32 v37, v37, v214
	v_sub_f32_e32 v38, v38, v215
	v_sub_f32_e32 v39, v39, v216
	.loc	1 53 26                         ; attention_bwd.py:53:26 @[ attention_bwd.py:200:26 ]
	v_exp_f32_e32 v40, v40
	v_exp_f32_e32 v41, v41
	.loc	1 53 32                         ; attention_bwd.py:53:32 @[ attention_bwd.py:200:26 ]
	v_sub_f32_e32 v42, v42, v219
	v_sub_f32_e32 v43, v43, v220
	;; [unrolled: 1-line block ×6, first 2 shown]
	.loc	1 53 26                         ; attention_bwd.py:53:26 @[ attention_bwd.py:200:26 ]
	v_exp_f32_e32 v34, v34
	v_exp_f32_e32 v35, v35
	;; [unrolled: 1-line block ×12, first 2 shown]
	v_mov_b32_e32 v224, v75
	v_mov_b32_e32 v223, v74
	;; [unrolled: 1-line block ×16, first 2 shown]
	.loc	1 66 24 is_stmt 1               ; attention_bwd.py:66:24 @[ attention_bwd.py:200:26 ]
	s_waitcnt vmcnt(0)
	ds_read_b128 v[190:193], v52 offset:8192
	s_waitcnt lgkmcnt(2)
	v_mfma_f32_32x32x16_f16 v[48:63], v[98:101], v[80:83], 0
	scratch_load_dwordx4 v[80:83], off, off offset:176 ; 16-byte Folded Reload
	ds_read_b128 v[98:101], v240 offset:8192
	.loc	1 58 21                         ; attention_bwd.py:58:21 @[ attention_bwd.py:200:26 ]
	ds_read_b64_tr_b16 v[248:249], v207 offset:8192
	ds_read_b64_tr_b16 v[116:117], v207 offset:12288
	;; [unrolled: 1-line block ×4, first 2 shown]
	.loc	1 66 24                         ; attention_bwd.py:66:24 @[ attention_bwd.py:200:26 ]
	s_waitcnt vmcnt(0) lgkmcnt(6)
	v_mfma_f32_32x32x16_f16 v[48:63], v[194:197], v[80:83], v[48:63]
	scratch_load_dwordx4 v[194:197], off, off ; 16-byte Folded Reload
	scratch_load_dwordx4 v[80:83], off, off offset:160 ; 16-byte Folded Reload
	s_waitcnt vmcnt(1) lgkmcnt(5)
	v_mfma_f32_32x32x16_f16 v[48:63], v[190:193], v[194:197], v[48:63]
	scratch_load_dwordx4 v[190:193], off, off ; 16-byte Folded Reload
	v_mfma_f32_32x32x16_f16 v[48:63], v[94:97], v[184:187], v[48:63]
	.loc	1 61 21                         ; attention_bwd.py:61:21 @[ attention_bwd.py:200:26 ]
	v_cvt_f16_f32_e32 v94, v34
	v_cvt_f16_f32_e32 v95, v35
	;; [unrolled: 1-line block ×4, first 2 shown]
	.loc	1 66 24                         ; attention_bwd.py:66:24 @[ attention_bwd.py:200:26 ]
	v_mfma_f32_32x32x16_f16 v[48:63], v[202:205], v[236:239], v[48:63]
	v_mfma_f32_32x32x16_f16 v[48:63], v[90:93], v[230:233], v[48:63]
	.loc	1 61 21                         ; attention_bwd.py:61:21 @[ attention_bwd.py:200:26 ]
	v_cvt_f16_f32_e32 v90, v32
	v_cvt_f16_f32_e32 v91, v33
	;; [unrolled: 1-line block ×4, first 2 shown]
	.loc	1 66 24                         ; attention_bwd.py:66:24 @[ attention_bwd.py:200:26 ]
	s_waitcnt vmcnt(1) lgkmcnt(4)
	v_mfma_f32_32x32x16_f16 v[48:63], v[98:101], v[80:83], v[48:63]
	scratch_load_dwordx4 v[80:83], off, off offset:144 ; 16-byte Folded Reload
	.loc	1 61 21                         ; attention_bwd.py:61:21 @[ attention_bwd.py:200:26 ]
	v_cvt_f16_f32_e32 v98, v36
	v_cvt_f16_f32_e32 v99, v37
	;; [unrolled: 1-line block ×4, first 2 shown]
	.loc	1 66 24                         ; attention_bwd.py:66:24 @[ attention_bwd.py:200:26 ]
	s_waitcnt vmcnt(0)
	v_mfma_f32_32x32x16_f16 v[48:63], v[252:255], v[80:83], v[48:63]
	.loc	1 67 26                         ; attention_bwd.py:67:26 @[ attention_bwd.py:200:26 ]
	s_nop 11
	v_pk_add_f32 v[48:49], v[48:49], v[124:125] neg_lo:[0,1] neg_hi:[0,1]
	.loc	1 67 20 is_stmt 0               ; attention_bwd.py:67:20 @[ attention_bwd.py:200:26 ]
	s_nop 0
	v_pk_mul_f32 v[32:33], v[32:33], v[48:49]
	.loc	1 67 26                         ; attention_bwd.py:67:26 @[ attention_bwd.py:200:26 ]
	v_pk_add_f32 v[56:57], v[56:57], v[130:131] neg_lo:[0,1] neg_hi:[0,1]
	.loc	1 68 21 is_stmt 1               ; attention_bwd.py:68:21 @[ attention_bwd.py:200:26 ]
	v_cvt_f16_f32_e32 v32, v32
	.loc	1 67 26                         ; attention_bwd.py:67:26 @[ attention_bwd.py:200:26 ]
	v_pk_add_f32 v[50:51], v[50:51], v[122:123] neg_lo:[0,1] neg_hi:[0,1]
	v_pk_add_f32 v[52:53], v[52:53], v[126:127] neg_lo:[0,1] neg_hi:[0,1]
	;; [unrolled: 1-line block ×3, first 2 shown]
	.loc	1 67 20 is_stmt 0               ; attention_bwd.py:67:20 @[ attention_bwd.py:200:26 ]
	v_pk_mul_f32 v[40:41], v[40:41], v[56:57]
	.loc	1 68 21 is_stmt 1               ; attention_bwd.py:68:21 @[ attention_bwd.py:200:26 ]
	v_cvt_f16_f32_e32 v33, v33
	.loc	1 67 26                         ; attention_bwd.py:67:26 @[ attention_bwd.py:200:26 ]
	v_pk_add_f32 v[58:59], v[58:59], v[132:133] neg_lo:[0,1] neg_hi:[0,1]
	v_pk_add_f32 v[60:61], v[60:61], v[134:135] neg_lo:[0,1] neg_hi:[0,1]
	;; [unrolled: 1-line block ×3, first 2 shown]
	.loc	1 61 21                         ; attention_bwd.py:61:21 @[ attention_bwd.py:200:26 ]
	v_cvt_f16_f32_e32 v122, v38
	v_cvt_f16_f32_e32 v123, v39
	.loc	1 67 20                         ; attention_bwd.py:67:20 @[ attention_bwd.py:200:26 ]
	v_pk_mul_f32 v[34:35], v[34:35], v[50:51]
	v_pk_mul_f32 v[36:37], v[36:37], v[52:53]
	;; [unrolled: 1-line block ×3, first 2 shown]
	.loc	1 68 21                         ; attention_bwd.py:68:21 @[ attention_bwd.py:200:26 ]
	v_cvt_f16_f32_e32 v40, v40
	.loc	1 61 21                         ; attention_bwd.py:61:21 @[ attention_bwd.py:200:26 ]
	v_cvt_f16_f32_e32 v124, v46
	v_cvt_f16_f32_e32 v125, v47
	.loc	1 67 20                         ; attention_bwd.py:67:20 @[ attention_bwd.py:200:26 ]
	v_pk_mul_f32 v[42:43], v[42:43], v[58:59]
	v_pk_mul_f32 v[44:45], v[44:45], v[60:61]
	;; [unrolled: 1-line block ×3, first 2 shown]
	.loc	1 68 21                         ; attention_bwd.py:68:21 @[ attention_bwd.py:200:26 ]
	v_cvt_f16_f32_e32 v41, v41
	v_cvt_f16_f32_e32 v34, v34
	v_cvt_f16_f32_e32 v35, v35
	v_cvt_f16_f32_e32 v36, v36
	v_cvt_f16_f32_e32 v37, v37
	v_cvt_f16_f32_e32 v38, v38
	v_cvt_f16_f32_e32 v39, v39
	v_cvt_f16_f32_e32 v42, v42
	v_cvt_f16_f32_e32 v43, v43
	v_cvt_f16_f32_e32 v44, v44
	v_cvt_f16_f32_e32 v45, v45
	v_cvt_f16_f32_e32 v46, v46
	v_cvt_f16_f32_e32 v47, v47
	.loc	1 61 21                         ; attention_bwd.py:61:21 @[ attention_bwd.py:200:26 ]
	ds_write_b16 v242, v90 offset:16384
	ds_write_b16 v242, v91 offset:16512
	;; [unrolled: 1-line block ×16, first 2 shown]
	s_waitcnt lgkmcnt(0)
	s_barrier
	.loc	1 64 21                         ; attention_bwd.py:64:21 @[ attention_bwd.py:200:26 ]
	global_load_dwordx3 v[94:96], v[172:173], off offset:4
	global_load_dwordx4 v[48:51], v[172:173], off offset:32
	global_load_dwordx4 v[52:55], v[172:173], off offset:64
	;; [unrolled: 1-line block ×3, first 2 shown]
	global_load_dword v124, v[174:175], off
	.loc	1 61 21                         ; attention_bwd.py:61:21 @[ attention_bwd.py:200:26 ]
	ds_read_b64_tr_b16 v[60:61], v177 offset:16384
	ds_read_b64_tr_b16 v[90:91], v177 offset:18432
	;; [unrolled: 1-line block ×4, first 2 shown]
	.loc	1 68 21                         ; attention_bwd.py:68:21 @[ attention_bwd.py:200:26 ]
	s_waitcnt lgkmcnt(0)
	s_barrier
	ds_write_b16 v242, v32 offset:16384
	ds_write_b16 v242, v33 offset:16512
	;; [unrolled: 1-line block ×16, first 2 shown]
	s_waitcnt lgkmcnt(0)
	s_barrier
	ds_read_b64_tr_b16 v[32:33], v177 offset:16384
	ds_read_b64_tr_b16 v[36:37], v177 offset:18432
	;; [unrolled: 1-line block ×4, first 2 shown]
	.loc	1 69 26                         ; attention_bwd.py:69:26 @[ attention_bwd.py:200:26 ]
	s_waitcnt lgkmcnt(1)
	v_mfma_f32_32x32x16_f16 v[0:15], v[112:115], v[32:35], v[0:15]
	scratch_load_dwordx4 v[112:115], off, off offset:128 ; 16-byte Folded Reload
	v_mov_b32_e32 v172, v79
	.loc	1 48 21                         ; attention_bwd.py:48:21 @[ attention_bwd.py:200:26 ]
	ds_write_b16 v176, v198
	ds_write_b16 v176, v199 offset:1024
	ds_write_b16 v176, v86 offset:2048
	;; [unrolled: 1-line block ×7, first 2 shown]
	.loc	1 58 21                         ; attention_bwd.py:58:21 @[ attention_bwd.py:200:26 ]
	ds_write_b16 v176, v188 offset:8192
	ds_write_b16 v176, v228 offset:12288
	ds_write_b16 v206, v227 offset:9216
	ds_write_b16 v206, v247 offset:13312
	ds_write_b16 v235, v103 offset:10240
	ds_write_b16 v235, v201 offset:14336
	ds_write_b16 v226, v102 offset:11264
	ds_write_b16 v226, v89 offset:15360
	s_waitcnt vmcnt(5)
	v_mov_b32_e32 v125, v94
	.loc	1 69 26                         ; attention_bwd.py:69:26 @[ attention_bwd.py:200:26 ]
	s_waitcnt lgkmcnt(14)
	v_mfma_f32_32x32x16_f16 v[0:15], v[108:111], v[36:39], v[0:15]
	scratch_load_dwordx4 v[108:111], off, off offset:112 ; 16-byte Folded Reload
	v_mov_b32_e32 v122, v95
	v_mov_b32_e32 v123, v96
	s_waitcnt vmcnt(5)
	v_mov_b32_e32 v126, v48
	v_mov_b32_e32 v127, v49
	;; [unrolled: 1-line block ×4, first 2 shown]
	.loc	1 62 26                         ; attention_bwd.py:62:26 @[ attention_bwd.py:200:26 ]
	v_mfma_f32_32x32x16_f16 v[16:31], v[248:251], v[60:63], v[16:31]
	s_waitcnt vmcnt(4)
	v_mov_b32_e32 v130, v52
	v_mov_b32_e32 v52, v84
	;; [unrolled: 1-line block ×5, first 2 shown]
	s_waitcnt vmcnt(3)
	v_mov_b32_e32 v134, v56
	v_mov_b32_e32 v135, v57
	v_mfma_f32_32x32x16_f16 v[16:31], v[116:119], v[90:93], v[16:31]
	v_mov_b32_e32 v136, v58
	v_mov_b32_e32 v137, v59
	.loc	1 47 25                         ; attention_bwd.py:47:25 @[ attention_bwd.py:200:26 ]
	s_cbranch_scc1 .LBB0_114
; %bb.115:                              ; %._crit_edge.loopexit
	.loc	1 0 25 is_stmt 0                ; attention_bwd.py:0:25
	v_mov_b32_e32 v220, v71
	v_mov_b32_e32 v219, v70
	;; [unrolled: 1-line block ×10, first 2 shown]
	scratch_load_dword v183, off, off offset:356 ; 4-byte Folded Reload
	scratch_load_dwordx2 v[196:197], off, off offset:360 ; 8-byte Folded Reload
	scratch_load_dwordx2 v[198:199], off, off offset:368 ; 8-byte Folded Reload
	;; [unrolled: 1-line block ×9, first 2 shown]
	scratch_load_dword v201, off, off offset:432 ; 4-byte Folded Reload
	scratch_load_dword v225, off, off offset:436 ; 4-byte Folded Reload
	scratch_load_dword v227, off, off offset:440 ; 4-byte Folded Reload
	scratch_load_dword v228, off, off offset:444 ; 4-byte Folded Reload
	scratch_load_dword v240, off, off offset:448 ; 4-byte Folded Reload
	scratch_load_dword v241, off, off offset:452 ; 4-byte Folded Reload
	scratch_load_dword v242, off, off offset:456 ; 4-byte Folded Reload
	scratch_load_dword v243, off, off offset:460 ; 4-byte Folded Reload
	scratch_load_dword v244, off, off offset:464 ; 4-byte Folded Reload
	scratch_load_dword v245, off, off offset:468 ; 4-byte Folded Reload
	scratch_load_dword v246, off, off offset:472 ; 4-byte Folded Reload
	scratch_load_dword v247, off, off offset:476 ; 4-byte Folded Reload
	scratch_load_dword v248, off, off offset:480 ; 4-byte Folded Reload
	scratch_load_dword v249, off, off offset:484 ; 4-byte Folded Reload
	scratch_load_dwordx2 v[174:175], off, off offset:488 ; 8-byte Folded Reload
	scratch_load_dwordx2 v[250:251], off, off offset:496 ; 8-byte Folded Reload
	;; [unrolled: 1-line block ×4, first 2 shown]
	scratch_load_dword v78, off, off offset:352 ; 4-byte Folded Reload
	scratch_load_dwordx2 v[80:81], off, off offset:520 ; 8-byte Folded Reload
	scratch_load_dwordx2 v[82:83], off, off offset:528 ; 8-byte Folded Reload
	scratch_load_dword v187, off, off offset:536 ; 4-byte Folded Reload
	scratch_load_dwordx4 v[202:205], off, off offset:176 ; 16-byte Folded Reload
	scratch_load_dwordx4 v[84:87], off, off offset:16 ; 16-byte Folded Reload
	scratch_load_dword v186, off, off offset:540 ; 4-byte Folded Reload
	scratch_load_dwordx4 v[64:67], off, off offset:32 ; 16-byte Folded Reload
	scratch_load_dwordx4 v[68:71], off, off offset:48 ; 16-byte Folded Reload
	;; [unrolled: 1-line block ×5, first 2 shown]
	scratch_load_dword v229, off, off offset:544 ; 4-byte Folded Reload
	scratch_load_dword v188, off, off offset:548 ; 4-byte Folded Reload
	;; [unrolled: 1-line block ×5, first 2 shown]
	v_xor_b32_e32 v32, 0x110, v52
	v_mov_b32_e32 v224, v75
	v_mov_b32_e32 v223, v74
	v_mov_b32_e32 v222, v73
	v_mov_b32_e32 v221, v72
	v_mov_b32_e32 v211, v77
	v_mov_b32_e32 v210, v76
	.loc	1 69 26 is_stmt 1               ; attention_bwd.py:69:26 @[ attention_bwd.py:200:26 ]
	s_branch .LBB0_117
.LBB0_116:
	.loc	1 0 26 is_stmt 0                ; attention_bwd.py:0:26
	scratch_load_dwordx4 v[84:87], off, off offset:16 ; 16-byte Folded Reload
	scratch_load_dwordx4 v[64:67], off, off offset:32 ; 16-byte Folded Reload
	;; [unrolled: 1-line block ×6, first 2 shown]
.LBB0_117:                              ; %Flow1324
	scratch_load_dwordx4 v[72:75], off, off offset:216 ; 16-byte Folded Reload
	.loc	1 69 26 is_stmt 1               ; attention_bwd.py:69:26 @[ attention_bwd.py:200:26 ]
	s_waitcnt vmcnt(1)
	v_or_b32_e32 v33, v36, v249
	v_or_b32_e32 v34, v33, v229
	v_add_u32_e32 v140, 0, v34
	v_bitop3_b32 v34, v33, 16, v229 bitop3:0x36
	v_add_u32_e32 v141, 0, v34
	v_bitop3_b32 v34, v33, 32, v229 bitop3:0x36
	v_bitop3_b32 v33, v33, 48, v229 bitop3:0x36
	v_add_u32_e32 v142, 0, v34
	v_add_u32_e32 v143, 0, v33
	.loc	1 52 24                         ; attention_bwd.py:52:24 @[ attention_bwd.py:200:26 ]
	s_and_b64 vcc, exec, s[0:1]
	v_add_u32_e32 v145, 0, v52
	v_add_u32_e32 v144, 0, v32
	.loc	1 69 26                         ; attention_bwd.py:69:26 @[ attention_bwd.py:200:26 ]
	s_waitcnt lgkmcnt(0)
	s_barrier
	s_cbranch_vccnz .LBB0_119
; %bb.118:
	.loc	1 0 0 is_stmt 0                 ; attention_bwd.py:0 @[ attention_bwd.py:200:26 ]
	ds_read_b64_tr_b16 v[50:51], v144
	ds_read_b64_tr_b16 v[48:49], v145
	ds_read_b64_tr_b16 v[52:53], v145 offset:1024
	ds_read_b64_tr_b16 v[56:57], v145 offset:2048
	;; [unrolled: 1-line block ×6, first 2 shown]
	.loc	1 52 24 is_stmt 1               ; attention_bwd.py:52:24 @[ attention_bwd.py:200:26 ]
	s_waitcnt lgkmcnt(6)
	v_mfma_f32_32x32x16_f16 v[32:47], v[48:51], v[112:115], 0
	.loc	1 0 0 is_stmt 0                 ; attention_bwd.py:0 @[ attention_bwd.py:200:26 ]
	ds_read_b64_tr_b16 v[50:51], v144 offset:4096
	.loc	1 52 24                         ; attention_bwd.py:52:24 @[ attention_bwd.py:200:26 ]
	s_waitcnt lgkmcnt(3)
	v_mfma_f32_32x32x16_f16 v[32:47], v[52:55], v[94:97], v[32:47]
	s_waitcnt lgkmcnt(2)
	v_mfma_f32_32x32x16_f16 v[32:47], v[56:59], v[98:101], v[32:47]
	;; [unrolled: 2-line block ×3, first 2 shown]
	.loc	1 0 0                           ; attention_bwd.py:0 @[ attention_bwd.py:200:26 ]
	ds_read_b64_tr_b16 v[48:49], v145 offset:4096
	ds_read_b64_tr_b16 v[52:53], v145 offset:5120
	;; [unrolled: 1-line block ×7, first 2 shown]
	.loc	1 52 24                         ; attention_bwd.py:52:24 @[ attention_bwd.py:200:26 ]
	s_waitcnt vmcnt(0) lgkmcnt(6)
	v_mfma_f32_32x32x16_f16 v[32:47], v[48:51], v[72:75], v[32:47]
	s_waitcnt lgkmcnt(2)
	v_mfma_f32_32x32x16_f16 v[32:47], v[52:55], v[64:67], v[32:47]
	s_waitcnt lgkmcnt(1)
	;; [unrolled: 2-line block ×3, first 2 shown]
	v_mfma_f32_32x32x16_f16 v[32:47], v[60:63], v[68:71], v[32:47]
	s_branch .LBB0_120
.Ltmp90:
.LBB0_119:
	.loc	1 200 26 is_stmt 1              ; attention_bwd.py:200:26
	v_mov_b32_e32 v32, 0
	v_mov_b32_e32 v33, 0
	;; [unrolled: 1-line block ×16, first 2 shown]
.LBB0_120:
.Ltmp91:
	.loc	1 53 32                         ; attention_bwd.py:53:32 @[ attention_bwd.py:200:26 ]
	s_nop 10
	v_sub_f32_e32 v32, v32, v209
	v_sub_f32_e32 v33, v33, v210
	.loc	1 53 26 is_stmt 0               ; attention_bwd.py:53:26 @[ attention_bwd.py:200:26 ]
	v_exp_f32_e32 v138, v32
	.loc	1 66 24 is_stmt 1               ; attention_bwd.py:66:24 @[ attention_bwd.py:200:26 ]
	v_xad_u32 v32, v83, 32, 0
	s_movk_i32 s2, 0x60
	.loc	1 0 0 is_stmt 0                 ; attention_bwd.py:0 @[ attention_bwd.py:200:26 ]
	ds_read_b64 v[94:95], v140
	ds_read_b64 v[96:97], v141
	ds_read_b64 v[90:91], v142
	ds_read_b64 v[92:93], v143
	.loc	1 53 26 is_stmt 1               ; attention_bwd.py:53:26 @[ attention_bwd.py:200:26 ]
	v_exp_f32_e32 v139, v33
	.loc	1 66 24                         ; attention_bwd.py:66:24 @[ attention_bwd.py:200:26 ]
	s_waitcnt lgkmcnt(0)
	s_barrier
	v_xad_u32 v33, v83, 64, 0
	ds_read_b128 v[104:107], v32 offset:8192
	ds_read_b128 v[98:101], v33 offset:8192
	v_bitop3_b32 v32, v187, s2, v78 bitop3:0x36
	s_movk_i32 s2, 0x80
	v_add_u32_e32 v32, 0, v32
	v_bitop3_b32 v33, v187, s2, v78 bitop3:0x36
	s_movk_i32 s2, 0xa0
	v_add_u32_e32 v33, 0, v33
	ds_read_b128 v[112:115], v32 offset:8192
	ds_read_b128 v[108:111], v33 offset:8192
	v_bitop3_b32 v32, v187, s2, v78 bitop3:0x36
	s_movk_i32 s2, 0xc0
	.loc	1 53 32                         ; attention_bwd.py:53:32 @[ attention_bwd.py:200:26 ]
	v_sub_f32_e32 v40, v40, v217
	.loc	1 66 24                         ; attention_bwd.py:66:24 @[ attention_bwd.py:200:26 ]
	v_bitop3_b32 v33, v187, s2, v78 bitop3:0x36
	.loc	1 53 32                         ; attention_bwd.py:53:32 @[ attention_bwd.py:200:26 ]
	v_sub_f32_e32 v41, v41, v218
	.loc	1 53 26 is_stmt 0               ; attention_bwd.py:53:26 @[ attention_bwd.py:200:26 ]
	v_exp_f32_e32 v70, v40
	.loc	1 66 24 is_stmt 1               ; attention_bwd.py:66:24 @[ attention_bwd.py:200:26 ]
	v_add_u32_e32 v32, 0, v32
	v_add_u32_e32 v33, 0, v33
	.loc	1 53 26                         ; attention_bwd.py:53:26 @[ attention_bwd.py:200:26 ]
	v_exp_f32_e32 v71, v41
	.loc	1 66 24                         ; attention_bwd.py:66:24 @[ attention_bwd.py:200:26 ]
	ds_read_b128 v[150:153], v32 offset:8192
	ds_read_b128 v[116:119], v33 offset:8192
	.loc	1 61 21                         ; attention_bwd.py:61:21 @[ attention_bwd.py:200:26 ]
	v_bitop3_b32 v33, s82, v186, v79 bitop3:0xf6
	.loc	1 53 32                         ; attention_bwd.py:53:32 @[ attention_bwd.py:200:26 ]
	v_sub_f32_e32 v34, v34, v211
	s_movk_i32 s2, 0xe0
	.loc	1 61 21                         ; attention_bwd.py:61:21 @[ attention_bwd.py:200:26 ]
	v_add_u32_e32 v146, 0, v33
	v_cvt_f16_f32_e32 v33, v138
	.loc	1 53 32                         ; attention_bwd.py:53:32 @[ attention_bwd.py:200:26 ]
	v_sub_f32_e32 v35, v35, v212
	.loc	1 53 26 is_stmt 0               ; attention_bwd.py:53:26 @[ attention_bwd.py:200:26 ]
	v_exp_f32_e32 v76, v34
	.loc	1 66 24 is_stmt 1               ; attention_bwd.py:66:24 @[ attention_bwd.py:200:26 ]
	v_bitop3_b32 v32, v187, s2, v78 bitop3:0x36
	.loc	1 61 21                         ; attention_bwd.py:61:21 @[ attention_bwd.py:200:26 ]
	v_cvt_f16_f32_e32 v34, v139
	.loc	1 53 32                         ; attention_bwd.py:53:32 @[ attention_bwd.py:200:26 ]
	v_sub_f32_e32 v36, v36, v213
	v_sub_f32_e32 v42, v42, v219
	.loc	1 53 26 is_stmt 0               ; attention_bwd.py:53:26 @[ attention_bwd.py:200:26 ]
	v_exp_f32_e32 v77, v35
	.loc	1 66 24 is_stmt 1               ; attention_bwd.py:66:24 @[ attention_bwd.py:200:26 ]
	v_add_u32_e32 v32, 0, v32
	.loc	1 61 21                         ; attention_bwd.py:61:21 @[ attention_bwd.py:200:26 ]
	v_cvt_f16_f32_e32 v35, v70
	.loc	1 53 32                         ; attention_bwd.py:53:32 @[ attention_bwd.py:200:26 ]
	v_sub_f32_e32 v43, v43, v220
	.loc	1 53 26 is_stmt 0               ; attention_bwd.py:53:26 @[ attention_bwd.py:200:26 ]
	s_waitcnt vmcnt(0)
	v_exp_f32_e32 v74, v36
	v_exp_f32_e32 v68, v42
	.loc	1 66 24 is_stmt 1               ; attention_bwd.py:66:24 @[ attention_bwd.py:200:26 ]
	ds_read_b128 v[158:161], v172 offset:8192
	ds_read_b128 v[154:157], v32 offset:8192
	.loc	1 58 21                         ; attention_bwd.py:58:21 @[ attention_bwd.py:200:26 ]
	ds_read_b64_tr_b16 v[52:53], v207 offset:8192
	ds_read_b64_tr_b16 v[48:49], v207 offset:12288
	;; [unrolled: 1-line block ×4, first 2 shown]
	.loc	1 61 21                         ; attention_bwd.py:61:21 @[ attention_bwd.py:200:26 ]
	v_xor_b32_e32 v32, v186, v79
	v_cvt_f16_f32_e32 v36, v71
	.loc	1 53 26                         ; attention_bwd.py:53:26 @[ attention_bwd.py:200:26 ]
	v_exp_f32_e32 v69, v43
	.loc	1 61 21                         ; attention_bwd.py:61:21 @[ attention_bwd.py:200:26 ]
	ds_write_b16 v146, v33 offset:16384
	ds_write_b16 v146, v34 offset:16512
	;; [unrolled: 1-line block ×4, first 2 shown]
	v_bitop3_b32 v33, s82, 8, v32 bitop3:0x36
	v_add_u32_e32 v147, 0, v33
	v_cvt_f16_f32_e32 v33, v76
	.loc	1 53 32                         ; attention_bwd.py:53:32 @[ attention_bwd.py:200:26 ]
	v_sub_f32_e32 v37, v37, v214
	.loc	1 61 21                         ; attention_bwd.py:61:21 @[ attention_bwd.py:200:26 ]
	v_cvt_f16_f32_e32 v34, v77
	.loc	1 53 32                         ; attention_bwd.py:53:32 @[ attention_bwd.py:200:26 ]
	v_sub_f32_e32 v44, v44, v221
	.loc	1 53 26 is_stmt 0               ; attention_bwd.py:53:26 @[ attention_bwd.py:200:26 ]
	v_exp_f32_e32 v75, v37
	.loc	1 61 21 is_stmt 1               ; attention_bwd.py:61:21 @[ attention_bwd.py:200:26 ]
	v_cvt_f16_f32_e32 v35, v68
	.loc	1 53 32                         ; attention_bwd.py:53:32 @[ attention_bwd.py:200:26 ]
	v_sub_f32_e32 v38, v38, v215
	v_sub_f32_e32 v45, v45, v222
	.loc	1 53 26 is_stmt 0               ; attention_bwd.py:53:26 @[ attention_bwd.py:200:26 ]
	v_exp_f32_e32 v66, v44
	.loc	1 61 21 is_stmt 1               ; attention_bwd.py:61:21 @[ attention_bwd.py:200:26 ]
	v_cvt_f16_f32_e32 v36, v69
	.loc	1 53 32                         ; attention_bwd.py:53:32 @[ attention_bwd.py:200:26 ]
	v_sub_f32_e32 v39, v39, v216
	.loc	1 53 26 is_stmt 0               ; attention_bwd.py:53:26 @[ attention_bwd.py:200:26 ]
	v_exp_f32_e32 v72, v38
	v_exp_f32_e32 v67, v45
	.loc	1 61 21 is_stmt 1               ; attention_bwd.py:61:21 @[ attention_bwd.py:200:26 ]
	ds_write_b16 v147, v33 offset:16640
	ds_write_b16 v147, v34 offset:16768
	;; [unrolled: 1-line block ×4, first 2 shown]
	v_bitop3_b32 v33, s82, 32, v32 bitop3:0x36
	.loc	1 53 32                         ; attention_bwd.py:53:32 @[ attention_bwd.py:200:26 ]
	v_sub_f32_e32 v46, v46, v223
	.loc	1 53 26 is_stmt 0               ; attention_bwd.py:53:26 @[ attention_bwd.py:200:26 ]
	v_exp_f32_e32 v73, v39
	.loc	1 61 21 is_stmt 1               ; attention_bwd.py:61:21 @[ attention_bwd.py:200:26 ]
	v_add_u32_e32 v148, 0, v33
	v_cvt_f16_f32_e32 v33, v74
	.loc	1 53 32                         ; attention_bwd.py:53:32 @[ attention_bwd.py:200:26 ]
	v_sub_f32_e32 v47, v47, v224
	.loc	1 53 26 is_stmt 0               ; attention_bwd.py:53:26 @[ attention_bwd.py:200:26 ]
	v_exp_f32_e32 v64, v46
	.loc	1 61 21 is_stmt 1               ; attention_bwd.py:61:21 @[ attention_bwd.py:200:26 ]
	v_cvt_f16_f32_e32 v34, v75
	.loc	1 53 26                         ; attention_bwd.py:53:26 @[ attention_bwd.py:200:26 ]
	v_exp_f32_e32 v65, v47
	.loc	1 61 21                         ; attention_bwd.py:61:21 @[ attention_bwd.py:200:26 ]
	v_cvt_f16_f32_e32 v35, v66
	v_bitop3_b32 v32, s82, 40, v32 bitop3:0x36
	v_cvt_f16_f32_e32 v36, v67
	v_add_u32_e32 v149, 0, v32
	v_cvt_f16_f32_e32 v32, v72
	ds_write_b16 v148, v33 offset:17408
	ds_write_b16 v148, v34 offset:17536
	ds_write_b16 v148, v35 offset:19456
	ds_write_b16 v148, v36 offset:19584
	v_cvt_f16_f32_e32 v33, v73
	v_cvt_f16_f32_e32 v34, v64
	;; [unrolled: 1-line block ×3, first 2 shown]
	.loc	1 66 24                         ; attention_bwd.py:66:24 @[ attention_bwd.py:200:26 ]
	s_and_b64 vcc, exec, s[0:1]
	.loc	1 61 21                         ; attention_bwd.py:61:21 @[ attention_bwd.py:200:26 ]
	ds_write_b16 v149, v32 offset:17664
	ds_write_b16 v149, v33 offset:17792
	;; [unrolled: 1-line block ×4, first 2 shown]
	s_waitcnt lgkmcnt(0)
	s_barrier
	.loc	1 66 24                         ; attention_bwd.py:66:24 @[ attention_bwd.py:200:26 ]
	s_cbranch_vccnz .LBB0_122
; %bb.121:
	.loc	1 0 0 is_stmt 0                 ; attention_bwd.py:0 @[ attention_bwd.py:200:26 ]
	ds_read_b64_tr_b16 v[56:57], v177 offset:16384
	ds_read_b64_tr_b16 v[58:59], v178 offset:17408
	.loc	1 62 26 is_stmt 1               ; attention_bwd.py:62:26 @[ attention_bwd.py:200:26 ]
	v_mov_b64_e32 v[46:47], v[30:31]
	v_mov_b64_e32 v[44:45], v[28:29]
	;; [unrolled: 1-line block ×8, first 2 shown]
	v_mov_b32_e32 v78, v82
	s_waitcnt lgkmcnt(0)
	v_mfma_f32_32x32x16_f16 v[32:47], v[52:55], v[56:59], v[32:47]
	.loc	1 0 0 is_stmt 0                 ; attention_bwd.py:0 @[ attention_bwd.py:200:26 ]
	ds_read_b64_tr_b16 v[52:53], v177 offset:18432
	ds_read_b64_tr_b16 v[54:55], v178 offset:19456
	.loc	1 62 26                         ; attention_bwd.py:62:26 @[ attention_bwd.py:200:26 ]
	s_waitcnt lgkmcnt(0)
	v_mfma_f32_32x32x16_f16 v[32:47], v[48:51], v[52:55], v[32:47]
	.loc	1 66 24 is_stmt 1               ; attention_bwd.py:66:24 @[ attention_bwd.py:200:26 ]
	v_mfma_f32_32x32x16_f16 v[48:63], v[158:161], v[84:87], 0
	scratch_load_dwordx4 v[84:87], off, off offset:336 ; 16-byte Folded Reload
	v_mfma_f32_32x32x16_f16 v[48:63], v[104:107], v[202:205], v[48:63]
	v_mfma_f32_32x32x16_f16 v[48:63], v[98:101], v[190:193], v[48:63]
	scratch_load_dwordx4 v[98:101], off, off offset:272 ; 16-byte Folded Reload
	s_waitcnt vmcnt(1)
	v_mfma_f32_32x32x16_f16 v[48:63], v[112:115], v[84:87], v[48:63]
	scratch_load_dwordx4 v[84:87], off, off offset:304 ; 16-byte Folded Reload
	s_waitcnt vmcnt(0)
	v_mfma_f32_32x32x16_f16 v[48:63], v[108:111], v[84:87], v[48:63]
	v_mov_b64_e32 v[86:87], v[80:81]
	scratch_load_dwordx4 v[80:83], off, off offset:160 ; 16-byte Folded Reload
	v_mfma_f32_32x32x16_f16 v[48:63], v[150:153], v[98:101], v[48:63]
	scratch_load_dwordx4 v[98:101], off, off offset:144 ; 16-byte Folded Reload
	s_waitcnt vmcnt(1)
	v_mfma_f32_32x32x16_f16 v[48:63], v[116:119], v[80:83], v[48:63]
	v_mov_b32_e32 v82, v78
	v_mov_b64_e32 v[80:81], v[86:87]
	s_waitcnt vmcnt(0)
	v_mfma_f32_32x32x16_f16 v[48:63], v[154:157], v[98:101], v[48:63]
	s_branch .LBB0_123
.LBB0_122:
	.loc	1 0 24 is_stmt 0                ; attention_bwd.py:0:24
	v_mov_b32_e32 v48, 0
	v_mov_b32_e32 v32, v16
	;; [unrolled: 1-line block ×32, first 2 shown]
.LBB0_123:
	.loc	1 67 26 is_stmt 1               ; attention_bwd.py:67:26 @[ attention_bwd.py:200:26 ]
	s_nop 10
	v_pk_add_f32 v[48:49], v[48:49], v[124:125] neg_lo:[0,1] neg_hi:[0,1]
	v_pk_add_f32 v[56:57], v[56:57], v[130:131] neg_lo:[0,1] neg_hi:[0,1]
	.loc	1 67 20 is_stmt 0               ; attention_bwd.py:67:20 @[ attention_bwd.py:200:26 ]
	v_pk_mul_f32 v[48:49], v[138:139], v[48:49]
	v_pk_mul_f32 v[56:57], v[70:71], v[56:57]
	.loc	1 68 21 is_stmt 1               ; attention_bwd.py:68:21 @[ attention_bwd.py:200:26 ]
	v_cvt_f16_f32_e32 v48, v48
	v_cvt_f16_f32_e32 v49, v49
	.loc	1 67 26                         ; attention_bwd.py:67:26 @[ attention_bwd.py:200:26 ]
	v_pk_add_f32 v[50:51], v[50:51], v[122:123] neg_lo:[0,1] neg_hi:[0,1]
	.loc	1 68 21                         ; attention_bwd.py:68:21 @[ attention_bwd.py:200:26 ]
	v_cvt_f16_f32_e32 v56, v56
	.loc	1 67 20                         ; attention_bwd.py:67:20 @[ attention_bwd.py:200:26 ]
	v_pk_mul_f32 v[50:51], v[76:77], v[50:51]
	.loc	1 68 21                         ; attention_bwd.py:68:21 @[ attention_bwd.py:200:26 ]
	v_cvt_f16_f32_e32 v57, v57
	.loc	1 67 26                         ; attention_bwd.py:67:26 @[ attention_bwd.py:200:26 ]
	v_pk_add_f32 v[58:59], v[58:59], v[132:133] neg_lo:[0,1] neg_hi:[0,1]
	.loc	1 68 21                         ; attention_bwd.py:68:21 @[ attention_bwd.py:200:26 ]
	s_waitcnt lgkmcnt(0)
	s_barrier
	ds_write_b16 v146, v48 offset:16384
	ds_write_b16 v146, v49 offset:16512
	;; [unrolled: 1-line block ×4, first 2 shown]
	v_cvt_f16_f32_e32 v48, v50
	.loc	1 67 20                         ; attention_bwd.py:67:20 @[ attention_bwd.py:200:26 ]
	v_pk_mul_f32 v[58:59], v[68:69], v[58:59]
	.loc	1 68 21                         ; attention_bwd.py:68:21 @[ attention_bwd.py:200:26 ]
	v_cvt_f16_f32_e32 v49, v51
	.loc	1 67 26                         ; attention_bwd.py:67:26 @[ attention_bwd.py:200:26 ]
	v_pk_add_f32 v[52:53], v[52:53], v[126:127] neg_lo:[0,1] neg_hi:[0,1]
	.loc	1 68 21                         ; attention_bwd.py:68:21 @[ attention_bwd.py:200:26 ]
	v_cvt_f16_f32_e32 v50, v58
	.loc	1 67 20                         ; attention_bwd.py:67:20 @[ attention_bwd.py:200:26 ]
	v_pk_mul_f32 v[52:53], v[74:75], v[52:53]
	.loc	1 68 21                         ; attention_bwd.py:68:21 @[ attention_bwd.py:200:26 ]
	v_cvt_f16_f32_e32 v51, v59
	.loc	1 67 26                         ; attention_bwd.py:67:26 @[ attention_bwd.py:200:26 ]
	v_pk_add_f32 v[60:61], v[60:61], v[134:135] neg_lo:[0,1] neg_hi:[0,1]
	.loc	1 68 21                         ; attention_bwd.py:68:21 @[ attention_bwd.py:200:26 ]
	ds_write_b16 v147, v48 offset:16640
	ds_write_b16 v147, v49 offset:16768
	;; [unrolled: 1-line block ×4, first 2 shown]
	v_cvt_f16_f32_e32 v48, v52
	.loc	1 67 20                         ; attention_bwd.py:67:20 @[ attention_bwd.py:200:26 ]
	v_pk_mul_f32 v[60:61], v[66:67], v[60:61]
	.loc	1 68 21                         ; attention_bwd.py:68:21 @[ attention_bwd.py:200:26 ]
	v_cvt_f16_f32_e32 v49, v53
	.loc	1 67 26                         ; attention_bwd.py:67:26 @[ attention_bwd.py:200:26 ]
	v_pk_add_f32 v[54:55], v[54:55], v[128:129] neg_lo:[0,1] neg_hi:[0,1]
	.loc	1 68 21                         ; attention_bwd.py:68:21 @[ attention_bwd.py:200:26 ]
	v_cvt_f16_f32_e32 v50, v60
	.loc	1 67 20                         ; attention_bwd.py:67:20 @[ attention_bwd.py:200:26 ]
	v_pk_mul_f32 v[54:55], v[72:73], v[54:55]
	.loc	1 68 21                         ; attention_bwd.py:68:21 @[ attention_bwd.py:200:26 ]
	v_cvt_f16_f32_e32 v51, v61
	.loc	1 67 26                         ; attention_bwd.py:67:26 @[ attention_bwd.py:200:26 ]
	v_pk_add_f32 v[62:63], v[62:63], v[136:137] neg_lo:[0,1] neg_hi:[0,1]
	.loc	1 68 21                         ; attention_bwd.py:68:21 @[ attention_bwd.py:200:26 ]
	ds_write_b16 v148, v48 offset:17408
	ds_write_b16 v148, v49 offset:17536
	;; [unrolled: 1-line block ×4, first 2 shown]
	v_cvt_f16_f32_e32 v48, v54
	.loc	1 67 20                         ; attention_bwd.py:67:20 @[ attention_bwd.py:200:26 ]
	v_pk_mul_f32 v[62:63], v[64:65], v[62:63]
	.loc	1 68 21                         ; attention_bwd.py:68:21 @[ attention_bwd.py:200:26 ]
	v_cvt_f16_f32_e32 v49, v55
	v_cvt_f16_f32_e32 v50, v62
	;; [unrolled: 1-line block ×3, first 2 shown]
	.loc	1 69 26                         ; attention_bwd.py:69:26 @[ attention_bwd.py:200:26 ]
	s_and_b64 vcc, exec, s[0:1]
	.loc	1 68 21                         ; attention_bwd.py:68:21 @[ attention_bwd.py:200:26 ]
	ds_write_b16 v149, v48 offset:17664
	ds_write_b16 v149, v49 offset:17792
	;; [unrolled: 1-line block ×4, first 2 shown]
	s_waitcnt lgkmcnt(0)
	s_barrier
	.loc	1 69 26                         ; attention_bwd.py:69:26 @[ attention_bwd.py:200:26 ]
	s_cbranch_vccnz .LBB0_125
; %bb.124:
	.loc	1 0 0 is_stmt 0                 ; attention_bwd.py:0 @[ attention_bwd.py:200:26 ]
	ds_read_b64_tr_b16 v[18:19], v177 offset:16384
	ds_read_b64_tr_b16 v[20:21], v178 offset:17408
	;; [unrolled: 1-line block ×4, first 2 shown]
	v_mov_b32_e32 v16, v32
	v_mov_b32_e32 v17, v33
	.loc	1 69 26                         ; attention_bwd.py:69:26 @[ attention_bwd.py:200:26 ]
	s_waitcnt lgkmcnt(2)
	v_mfma_f32_32x32x16_f16 v[0:15], v[94:97], v[18:21], v[0:15]
	v_mov_b32_e32 v18, v34
	v_mov_b32_e32 v19, v35
	;; [unrolled: 1-line block ×7, first 2 shown]
	s_waitcnt lgkmcnt(0)
	v_mfma_f32_32x32x16_f16 v[0:15], v[90:93], v[26:29], v[0:15]
	v_mov_b32_e32 v25, v41
	v_mov_b32_e32 v26, v42
	;; [unrolled: 1-line block ×7, first 2 shown]
.Ltmp92:
.LBB0_125:
	.loc	1 153 10 is_stmt 1              ; attention_bwd.py:153:10
	s_add_u32 s0, s14, s18
	s_addc_u32 s1, s15, s19
	.loc	1 154 10                        ; attention_bwd.py:154:10
	s_add_u32 s10, s20, s18
	s_addc_u32 s11, s21, s19
	.loc	1 165 36                        ; attention_bwd.py:165:36
	s_lshr_b32 s2, s81, 3
	v_or_b32_e32 v32, s2, v183
	.loc	1 165 23 is_stmt 0              ; attention_bwd.py:165:23
	v_or_b32_e32 v32, s9, v32
	.loc	1 171 38 is_stmt 1              ; attention_bwd.py:171:38
	v_mul_lo_u32 v64, v32, s28
	.loc	1 171 58 is_stmt 0              ; attention_bwd.py:171:58
	v_or_b32_e32 v32, s83, v249
	v_or_b32_e32 v33, 1, v32
	;; [unrolled: 1-line block ×16, first 2 shown]
	.loc	1 171 69                        ; attention_bwd.py:171:69
	v_mul_lo_u32 v66, v32, s29
	.loc	1 204 19 is_stmt 1              ; attention_bwd.py:204:19
	v_ashrrev_i32_e32 v65, 31, v64
	.loc	1 171 69                        ; attention_bwd.py:171:69
	v_mul_lo_u32 v48, v33, s29
	v_mul_lo_u32 v50, v34, s29
	;; [unrolled: 1-line block ×15, first 2 shown]
	.loc	1 204 19                        ; attention_bwd.py:204:19
	v_lshlrev_b64 v[32:33], 1, v[64:65]
	.loc	1 204 50 is_stmt 0              ; attention_bwd.py:204:50
	v_ashrrev_i32_e32 v67, 31, v66
	.loc	1 204 19                        ; attention_bwd.py:204:19
	v_lshl_add_u64 v[34:35], s[10:11], 0, v[32:33]
	.loc	1 204 50                        ; attention_bwd.py:204:50
	v_lshlrev_b64 v[36:37], 1, v[66:67]
	v_ashrrev_i32_e32 v49, 31, v48
	v_ashrrev_i32_e32 v51, 31, v50
	;; [unrolled: 1-line block ×15, first 2 shown]
	.loc	1 205 22 is_stmt 1              ; attention_bwd.py:205:22
	v_cvt_pk_f16_f32 v16, v16, v17
	v_cvt_pk_f16_f32 v17, v18, v19
	;; [unrolled: 1-line block ×4, first 2 shown]
	.loc	1 165 36                        ; attention_bwd.py:165:36
	s_lshr_b32 s2, s82, 1
	.loc	1 204 50                        ; attention_bwd.py:204:50
	v_lshl_add_u64 v[38:39], v[34:35], 0, v[36:37]
	v_lshlrev_b64 v[40:41], 1, v[48:49]
	v_lshlrev_b64 v[44:45], 1, v[50:51]
	;; [unrolled: 1-line block ×15, first 2 shown]
	.loc	1 205 22                        ; attention_bwd.py:205:22
	v_cvt_pk_f16_f32 v20, v24, v25
	v_cvt_pk_f16_f32 v21, v26, v27
	;; [unrolled: 1-line block ×4, first 2 shown]
	v_permlane32_swap_b32_e32 v16, v18
	v_permlane32_swap_b32_e32 v17, v19
	.loc	1 204 50                        ; attention_bwd.py:204:50
	v_lshl_add_u64 v[42:43], v[34:35], 0, v[40:41]
	v_lshl_add_u64 v[46:47], v[34:35], 0, v[44:45]
	;; [unrolled: 1-line block ×15, first 2 shown]
	.loc	1 205 22                        ; attention_bwd.py:205:22
	v_permlane32_swap_b32_e32 v20, v22
	v_permlane32_swap_b32_e32 v21, v23
	global_store_short v[38:39], v16, off
	global_store_short_d16_hi v[42:43], v16, off
	global_store_short v[46:47], v17, off
	global_store_short_d16_hi v[90:91], v17, off
	global_store_short v[94:95], v18, off
	global_store_short_d16_hi v[98:99], v18, off
	global_store_short v[102:103], v19, off
	global_store_short_d16_hi v[106:107], v19, off
	global_store_short v[110:111], v20, off
	global_store_short_d16_hi v[114:115], v20, off
	global_store_short v[118:119], v21, off
	global_store_short_d16_hi v[126:127], v21, off
	global_store_short v[130:131], v22, off
	global_store_short_d16_hi v[134:135], v22, off
	global_store_short v[138:139], v23, off
	global_store_short_d16_hi v[34:35], v23, off
	.loc	1 209 19                        ; attention_bwd.py:209:19
	v_lshl_add_u64 v[16:17], s[0:1], 0, v[32:33]
	.loc	1 220 20                        ; attention_bwd.py:220:20
	s_add_u32 s0, s36, s40
	s_addc_u32 s1, s37, s41
	s_add_u32 s10, s36, s50
	s_addc_u32 s11, s37, s51
	;; [unrolled: 2-line block ×14, first 2 shown]
	.loc	1 208 10                        ; attention_bwd.py:208:10
	v_pk_mul_f32 v[0:1], s[8:9], v[0:1] op_sel_hi:[0,1]
	v_pk_mul_f32 v[2:3], s[8:9], v[2:3] op_sel_hi:[0,1]
	v_pk_mul_f32 v[4:5], s[8:9], v[4:5] op_sel_hi:[0,1]
	v_pk_mul_f32 v[6:7], s[8:9], v[6:7] op_sel_hi:[0,1]
	v_pk_mul_f32 v[8:9], s[8:9], v[8:9] op_sel_hi:[0,1]
	v_pk_mul_f32 v[10:11], s[8:9], v[10:11] op_sel_hi:[0,1]
	v_pk_mul_f32 v[12:13], s[8:9], v[12:13] op_sel_hi:[0,1]
	v_pk_mul_f32 v[14:15], s[8:9], v[14:15] op_sel_hi:[0,1]
	.loc	1 220 20                        ; attention_bwd.py:220:20
	s_add_u32 s66, s36, s68
	.loc	1 210 22                        ; attention_bwd.py:210:22
	v_cvt_pk_f16_f32 v0, v0, v1
	v_cvt_pk_f16_f32 v1, v2, v3
	v_cvt_pk_f16_f32 v2, v4, v5
	v_cvt_pk_f16_f32 v3, v6, v7
	v_cvt_pk_f16_f32 v4, v8, v9
	v_cvt_pk_f16_f32 v5, v10, v11
	v_cvt_pk_f16_f32 v6, v12, v13
	v_cvt_pk_f16_f32 v7, v14, v15
	.loc	1 220 20                        ; attention_bwd.py:220:20
	s_addc_u32 s67, s37, s69
	.loc	1 209 50                        ; attention_bwd.py:209:50
	v_lshl_add_u64 v[18:19], v[16:17], 0, v[36:37]
	.loc	1 210 22                        ; attention_bwd.py:210:22
	v_permlane32_swap_b32_e32 v0, v2
	v_permlane32_swap_b32_e32 v1, v3
	;; [unrolled: 1-line block ×4, first 2 shown]
	.loc	1 220 20                        ; attention_bwd.py:220:20
	s_add_u32 s36, s36, s70
	.loc	1 209 50                        ; attention_bwd.py:209:50
	v_lshl_add_u64 v[20:21], v[16:17], 0, v[40:41]
	v_lshl_add_u64 v[22:23], v[16:17], 0, v[44:45]
	;; [unrolled: 1-line block ×15, first 2 shown]
	.loc	1 210 22                        ; attention_bwd.py:210:22
	global_store_short v[18:19], v0, off
	global_store_short_d16_hi v[20:21], v0, off
	global_store_short v[22:23], v1, off
	global_store_short_d16_hi v[24:25], v1, off
	global_store_short v[26:27], v2, off
	global_store_short_d16_hi v[28:29], v2, off
	global_store_short v[30:31], v3, off
	global_store_short_d16_hi v[32:33], v3, off
	global_store_short v[34:35], v4, off
	global_store_short_d16_hi v[36:37], v4, off
	global_store_short v[38:39], v5, off
	global_store_short_d16_hi v[40:41], v5, off
	global_store_short v[42:43], v6, off
	global_store_short_d16_hi v[44:45], v6, off
	global_store_short v[46:47], v7, off
	global_store_short_d16_hi v[16:17], v7, off
	.loc	1 220 20                        ; attention_bwd.py:220:20
	s_addc_u32 s37, s37, s71
	.loc	1 220 51 is_stmt 0              ; attention_bwd.py:220:51
	v_lshl_add_u64 v[0:1], s[0:1], 0, v[80:81]
	v_lshl_add_u64 v[2:3], s[10:11], 0, v[80:81]
	;; [unrolled: 1-line block ×16, first 2 shown]
	.loc	1 220 16                        ; attention_bwd.py:220:16
	global_load_ushort v0, v[0:1], off
	s_nop 0
	global_load_ushort v1, v[8:9], off
	s_nop 0
	global_load_ushort v8, v[16:17], off
	global_load_ushort v9, v[24:25], off
	s_nop 0
	global_load_ushort v2, v[2:3], off
	s_nop 0
	global_load_ushort v3, v[10:11], off
	s_nop 0
	global_load_ushort v10, v[18:19], off
	global_load_ushort v11, v[26:27], off
	s_nop 0
	;; [unrolled: 7-line block ×3, first 2 shown]
	global_load_ushort v14, v[14:15], off
	s_nop 0
	global_load_ushort v6, v[6:7], off
	s_nop 0
	global_load_ushort v7, v[30:31], off
	global_load_ushort v15, v[22:23], off
	.loc	1 222 22 is_stmt 1              ; attention_bwd.py:222:22
	s_add_u32 s0, s33, s42
	s_addc_u32 s1, s80, s43
	s_add_u32 s10, s33, s44
	s_addc_u32 s11, s80, s45
	;; [unrolled: 2-line block ×11, first 2 shown]
	s_add_u32 s50, s42, s38
	.loc	1 220 16                        ; attention_bwd.py:220:16
	s_waitcnt vmcnt(15)
	ds_write_b16 v176, v0
	s_waitcnt vmcnt(14)
	ds_write_b16 v176, v1 offset:4096
	s_waitcnt vmcnt(13)
	ds_write_b16 v176, v8 offset:8192
	;; [unrolled: 2-line block ×12, first 2 shown]
	ds_write_b16 v226, v14 offset:7168
	s_waitcnt vmcnt(0)
	ds_write_b16 v226, v15 offset:11264
	ds_write_b16 v226, v7 offset:15360
	.loc	1 222 22                        ; attention_bwd.py:222:22
	s_addc_u32 s51, s43, s39
	.loc	1 222 53 is_stmt 0              ; attention_bwd.py:222:53
	v_lshl_add_u64 v[0:1], s[0:1], 0, v[80:81]
	v_lshl_add_u64 v[2:3], s[10:11], 0, v[80:81]
	;; [unrolled: 1-line block ×8, first 2 shown]
	scratch_store_dwordx2 off, v[48:49], off ; 8-byte Folded Spill
	scratch_store_dwordx2 off, v[50:51], off offset:16 ; 8-byte Folded Spill
	scratch_store_dwordx2 off, v[52:53], off offset:32 ; 8-byte Folded Spill
	;; [unrolled: 1-line block ×7, first 2 shown]
	.loc	1 220 16 is_stmt 1              ; attention_bwd.py:220:16
	s_waitcnt lgkmcnt(0)
	s_barrier
	.loc	1 222 53                        ; attention_bwd.py:222:53
	v_lshl_add_u64 v[14:15], s[42:43], 0, v[80:81]
	v_lshl_add_u64 v[18:19], s[46:47], 0, v[80:81]
	;; [unrolled: 1-line block ×4, first 2 shown]
	.loc	1 222 17 is_stmt 0              ; attention_bwd.py:222:17
	global_load_ushort v34, v[196:197], off
	s_nop 0
	global_load_ushort v0, v[0:1], off
	s_nop 0
	;; [unrolled: 2-line block ×3, first 2 shown]
	global_load_ushort v8, v[16:17], off
	global_load_ushort v9, v[238:239], off
	s_nop 0
	global_load_ushort v2, v[2:3], off
	s_nop 0
	;; [unrolled: 2-line block ×3, first 2 shown]
	global_load_ushort v10, v[18:19], off
	global_load_ushort v11, v[164:165], off
	s_nop 0
	global_load_ushort v4, v[4:5], off
	s_nop 0
	global_load_ushort v5, v[12:13], off
	global_load_ushort v16, v[20:21], off
	;; [unrolled: 1-line block ×3, first 2 shown]
                                        ; kill: killed $vgpr20_vgpr21
                                        ; kill: killed $vgpr6_vgpr7
                                        ; kill: killed $vgpr12_vgpr13
	s_nop 0
	global_load_ushort v6, v[162:163], off
	global_load_ushort v7, v[22:23], off
	;; [unrolled: 1-line block ×3, first 2 shown]
	.loc	1 220 16 is_stmt 1              ; attention_bwd.py:220:16
	ds_read_b128 v[220:223], v228
	ds_read_b128 v[216:219], v240
	;; [unrolled: 1-line block ×12, first 2 shown]
	.loc	1 222 17                        ; attention_bwd.py:222:17
	s_waitcnt lgkmcnt(0)
	s_barrier
	s_waitcnt vmcnt(15)
	ds_write_b16 v176, v34
	s_waitcnt vmcnt(14)
	ds_write_b16 v176, v0 offset:4096
	s_waitcnt vmcnt(13)
	ds_write_b16 v176, v1 offset:8192
	;; [unrolled: 2-line block ×12, first 2 shown]
	ds_write_b16 v226, v17 offset:7168
	s_waitcnt vmcnt(0)
	ds_write_b16 v226, v12 offset:11264
	ds_write_b16 v226, v7 offset:15360
	s_waitcnt lgkmcnt(0)
	s_barrier
	scratch_load_dwordx2 v[60:61], off, off offset:320 ; 8-byte Folded Reload
.Ltmp93:
	.loc	1 93 18                         ; attention_bwd.py:93:18 @[ attention_bwd.py:240:70 ]
	v_lshl_add_u64 v[0:1], s[34:35], 0, v[198:199]
	.loc	1 93 49 is_stmt 0               ; attention_bwd.py:93:49 @[ attention_bwd.py:240:70 ]
	v_lshl_add_u64 v[2:3], v[0:1], 0, v[230:231]
	.loc	1 94 18 is_stmt 1               ; attention_bwd.py:94:18 @[ attention_bwd.py:240:70 ]
	v_lshl_add_u64 v[8:9], s[26:27], 0, v[198:199]
	.loc	1 93 49                         ; attention_bwd.py:93:49 @[ attention_bwd.py:240:70 ]
	v_lshl_add_u64 v[4:5], v[0:1], 0, v[232:233]
	v_lshl_add_u64 v[6:7], v[0:1], 0, v[184:185]
	;; [unrolled: 1-line block ×3, first 2 shown]
	.loc	1 94 49                         ; attention_bwd.py:94:49 @[ attention_bwd.py:240:70 ]
	v_lshl_add_u64 v[10:11], v[8:9], 0, v[230:231]
	v_lshl_add_u64 v[12:13], v[8:9], 0, v[232:233]
	v_lshl_add_u64 v[14:15], v[8:9], 0, v[184:185]
	v_lshl_add_u64 v[8:9], v[8:9], 0, v[236:237]
	.loc	1 102 21                        ; attention_bwd.py:102:21 @[ attention_bwd.py:240:70 ]
	global_load_ushort v48, v[2:3], off
	global_load_ushort v49, v[4:5], off
	;; [unrolled: 1-line block ×4, first 2 shown]
	.loc	1 103 21                        ; attention_bwd.py:103:21 @[ attention_bwd.py:240:70 ]
	global_load_ushort v52, v[10:11], off
	global_load_ushort v53, v[12:13], off
	;; [unrolled: 1-line block ×4, first 2 shown]
.Ltmp94:
	.loc	1 165 23                        ; attention_bwd.py:165:23
	v_or_b32_e32 v16, s2, v183
	v_or_b32_e32 v46, s9, v16
	.loc	1 224 20                        ; attention_bwd.py:224:20
	v_ashrrev_i32_e32 v47, 31, v46
	v_lshlrev_b64 v[46:47], 2, v[46:47]
	v_lshl_add_u64 v[86:87], s[22:23], 0, v[46:47]
.Ltmp95:
	.loc	1 96 21                         ; attention_bwd.py:96:21 @[ attention_bwd.py:240:70 ]
	v_lshl_add_u64 v[46:47], s[24:25], 0, v[46:47]
.Ltmp96:
	.loc	1 222 17                        ; attention_bwd.py:222:17
	ds_read_b128 v[158:161], v228
	ds_read_b128 v[154:157], v240
	;; [unrolled: 1-line block ×12, first 2 shown]
	.loc	1 224 16                        ; attention_bwd.py:224:16
	global_load_dword v126, v[86:87], off
.Ltmp97:
	.loc	1 96 17                         ; attention_bwd.py:96:17 @[ attention_bwd.py:240:70 ]
	global_load_dword v78, v[46:47], off
	.loc	1 120 19                        ; attention_bwd.py:120:19 @[ attention_bwd.py:240:70 ]
	v_lshl_add_u64 v[46:47], v[2:3], 0, s[38:39]
	v_lshl_add_u64 v[86:87], v[6:7], 0, s[38:39]
	;; [unrolled: 1-line block ×3, first 2 shown]
	.loc	1 121 19                        ; attention_bwd.py:121:19 @[ attention_bwd.py:240:70 ]
	v_lshl_add_u64 v[96:97], v[10:11], 0, s[38:39]
	v_lshl_add_u64 v[102:103], v[8:9], 0, s[38:39]
	;; [unrolled: 1-line block ×4, first 2 shown]
	.loc	1 109 39                        ; attention_bwd.py:109:39 @[ attention_bwd.py:240:70 ]
	v_cmp_lt_u32_e32 vcc, v82, v201
	.loc	1 119 18                        ; attention_bwd.py:119:18 @[ attention_bwd.py:240:70 ]
	s_or_b32 s0, s9, 16
.Ltmp98:
	.loc	1 245 29                        ; attention_bwd.py:245:29
	s_ashr_i32 s8, s9, 5
	.loc	1 224 20                        ; attention_bwd.py:224:20
	s_waitcnt vmcnt(10)
	v_ashrrev_i32_e32 v17, 31, v60
	v_mov_b32_e32 v16, v60
	v_lshlrev_b64 v[80:81], 2, v[16:17]
	v_lshl_add_u64 v[16:17], s[22:23], 0, v[80:81]
	.loc	1 224 16 is_stmt 0              ; attention_bwd.py:224:16
	global_load_dword v17, v[16:17], off
.Ltmp99:
	.loc	1 96 21 is_stmt 1               ; attention_bwd.py:96:21 @[ attention_bwd.py:240:70 ]
	v_lshl_add_u64 v[80:81], s[24:25], 0, v[80:81]
	.loc	1 96 17 is_stmt 0               ; attention_bwd.py:96:17 @[ attention_bwd.py:240:70 ]
	global_load_dword v16, v[80:81], off
	.loc	1 102 21 is_stmt 1              ; attention_bwd.py:102:21 @[ attention_bwd.py:240:70 ]
	s_waitcnt lgkmcnt(0)
	s_barrier
	s_waitcnt vmcnt(11)
	ds_write_b16 v180, v48
	s_waitcnt vmcnt(10)
	ds_write_b16 v180, v49 offset:1024
	s_waitcnt vmcnt(9)
	ds_write_b16 v180, v50 offset:2048
	;; [unrolled: 2-line block ×3, first 2 shown]
	.loc	1 103 21                        ; attention_bwd.py:103:21 @[ attention_bwd.py:240:70 ]
	s_waitcnt vmcnt(7)
	ds_write_b16 v180, v52 offset:4096
	s_waitcnt vmcnt(6)
	ds_write_b16 v180, v53 offset:5120
	;; [unrolled: 2-line block ×4, first 2 shown]
	.loc	1 120 19                        ; attention_bwd.py:120:19 @[ attention_bwd.py:240:70 ]
	v_lshl_add_u64 v[80:81], v[4:5], 0, s[38:39]
	.loc	1 102 21                        ; attention_bwd.py:102:21 @[ attention_bwd.py:240:70 ]
	global_load_ushort v48, v[46:47], off
	global_load_ushort v49, v[80:81], off
	;; [unrolled: 1-line block ×4, first 2 shown]
	.loc	1 117 25                        ; attention_bwd.py:117:25 @[ attention_bwd.py:240:70 ]
	s_waitcnt lgkmcnt(0)
	s_barrier
	.loc	1 102 21                        ; attention_bwd.py:102:21 @[ attention_bwd.py:240:70 ]
	ds_read_b64_tr_b16 v[0:1], v179
	ds_read_b64_tr_b16 v[2:3], v179 offset:128
	ds_read_b64_tr_b16 v[4:5], v179 offset:1024
	;; [unrolled: 1-line block ×3, first 2 shown]
	.loc	1 117 25                        ; attention_bwd.py:117:25 @[ attention_bwd.py:240:70 ]
	ds_read_b64 v[106:107], v182
	.loc	1 104 23                        ; attention_bwd.py:104:23 @[ attention_bwd.py:240:70 ]
	s_waitcnt lgkmcnt(3)
	v_mfma_f32_16x16x32_f16 v[0:3], v[0:3], v[30:33], 0
	.loc	1 102 21                        ; attention_bwd.py:102:21 @[ attention_bwd.py:240:70 ]
	ds_read_b64_tr_b16 v[8:9], v179 offset:2048
	ds_read_b64_tr_b16 v[10:11], v179 offset:2176
	.loc	1 117 25                        ; attention_bwd.py:117:25 @[ attention_bwd.py:240:70 ]
	ds_read_b64 v[104:105], v181
	.loc	1 103 21                        ; attention_bwd.py:103:21 @[ attention_bwd.py:240:70 ]
	ds_read_b64_tr_b16 v[108:109], v179 offset:6144
	ds_read_b64_tr_b16 v[110:111], v179 offset:6272
	scratch_load_dwordx2 v[56:57], off, off offset:264 ; 8-byte Folded Reload
	.loc	1 104 23                        ; attention_bwd.py:104:23 @[ attention_bwd.py:240:70 ]
	s_waitcnt lgkmcnt(6)
	v_mfma_f32_16x16x32_f16 v[0:3], v[4:7], v[26:29], v[0:3]
	.loc	1 102 21                        ; attention_bwd.py:102:21 @[ attention_bwd.py:240:70 ]
	ds_read_b64_tr_b16 v[4:5], v179 offset:3072
	ds_read_b64_tr_b16 v[6:7], v179 offset:3200
	.loc	1 103 21                        ; attention_bwd.py:103:21 @[ attention_bwd.py:240:70 ]
	global_load_ushort v52, v[96:97], off
	global_load_ushort v53, v[98:99], off
	;; [unrolled: 1-line block ×4, first 2 shown]
	ds_read_b64_tr_b16 v[112:113], v179 offset:7168
	ds_read_b64_tr_b16 v[114:115], v179 offset:7296
	.loc	1 104 23                        ; attention_bwd.py:104:23 @[ attention_bwd.py:240:70 ]
	s_waitcnt lgkmcnt(7)
	v_mfma_f32_16x16x32_f16 v[0:3], v[8:11], v[22:25], v[0:3]
	.loc	1 103 21                        ; attention_bwd.py:103:21 @[ attention_bwd.py:240:70 ]
	ds_read_b64_tr_b16 v[8:9], v179 offset:4096
	ds_read_b64_tr_b16 v[10:11], v179 offset:4224
	;; [unrolled: 1-line block ×4, first 2 shown]
	.loc	1 120 19                        ; attention_bwd.py:120:19 @[ attention_bwd.py:240:70 ]
	v_lshl_add_u64 v[46:47], v[46:47], 0, s[38:39]
	v_lshl_add_u64 v[80:81], v[80:81], 0, s[38:39]
	.loc	1 104 23                        ; attention_bwd.py:104:23 @[ attention_bwd.py:240:70 ]
	s_waitcnt lgkmcnt(6)
	v_mfma_f32_16x16x32_f16 v[0:3], v[4:7], v[18:21], v[0:3]
	.loc	1 120 19                        ; attention_bwd.py:120:19 @[ attention_bwd.py:240:70 ]
	v_lshl_add_u64 v[86:87], v[86:87], 0, s[38:39]
	.loc	1 121 19                        ; attention_bwd.py:121:19 @[ attention_bwd.py:240:70 ]
	v_lshl_add_u64 v[102:103], v[102:103], 0, s[38:39]
	.loc	1 112 24                        ; attention_bwd.py:112:24 @[ attention_bwd.py:240:70 ]
	s_waitcnt lgkmcnt(2)
	v_mfma_f32_16x16x32_f16 v[4:7], v[8:11], v[90:93], 0
	s_waitcnt lgkmcnt(0)
	v_mfma_f32_16x16x32_f16 v[4:7], v[12:15], v[42:45], v[4:7]
	.loc	1 105 30                        ; attention_bwd.py:105:30 @[ attention_bwd.py:240:70 ]
	s_waitcnt vmcnt(10)
	s_nop 0
	v_sub_f32_e32 v0, v0, v17
	v_sub_f32_e32 v8, v1, v17
	;; [unrolled: 1-line block ×4, first 2 shown]
	.loc	1 105 25 is_stmt 0              ; attention_bwd.py:105:25 @[ attention_bwd.py:240:70 ]
	v_exp_f32_e32 v11, v0
	.loc	1 112 24 is_stmt 1              ; attention_bwd.py:112:24 @[ attention_bwd.py:240:70 ]
	v_mfma_f32_16x16x32_f16 v[0:3], v[108:111], v[38:41], v[4:7]
	.loc	1 105 25                        ; attention_bwd.py:105:25 @[ attention_bwd.py:240:70 ]
	s_nop 2
	v_exp_f32_e32 v4, v8
	v_exp_f32_e32 v6, v9
	scratch_load_dwordx2 v[8:9], off, off offset:296 ; 8-byte Folded Reload
	.loc	1 112 24                        ; attention_bwd.py:112:24 @[ attention_bwd.py:240:70 ]
	v_mfma_f32_16x16x32_f16 v[0:3], v[112:115], v[34:37], v[0:3]
	.loc	1 105 25                        ; attention_bwd.py:105:25 @[ attention_bwd.py:240:70 ]
	v_exp_f32_e32 v7, v10
	.loc	1 110 34                        ; attention_bwd.py:110:34 @[ attention_bwd.py:240:70 ]
	v_cndmask_b32_e32 v5, 0, v4, vcc
	v_cmp_ge_u32_e32 vcc, v201, v82
	s_waitcnt vmcnt(0)
	v_mov_b32_e32 v56, v8
	v_cndmask_b32_e32 v4, 0, v11, vcc
	.loc	1 113 23                        ; attention_bwd.py:113:23 @[ attention_bwd.py:240:70 ]
	s_nop 1
	v_pk_add_f32 v[0:1], v[0:1], v[16:17] op_sel_hi:[1,0] neg_lo:[0,1] neg_hi:[0,1]
	.loc	1 110 34                        ; attention_bwd.py:110:34 @[ attention_bwd.py:240:70 ]
	v_cmp_ge_u32_e32 vcc, v201, v57
	.loc	1 113 18                        ; attention_bwd.py:113:18 @[ attention_bwd.py:240:70 ]
	v_pk_mul_f32 v[0:1], v[4:5], v[0:1]
	.loc	1 113 23 is_stmt 0              ; attention_bwd.py:113:23 @[ attention_bwd.py:240:70 ]
	v_pk_add_f32 v[2:3], v[2:3], v[16:17] op_sel_hi:[1,0] neg_lo:[0,1] neg_hi:[0,1]
	.loc	1 110 34 is_stmt 1              ; attention_bwd.py:110:34 @[ attention_bwd.py:240:70 ]
	v_cndmask_b32_e32 v5, 0, v7, vcc
	v_cmp_ge_u32_e32 vcc, v201, v56
	.loc	1 114 19                        ; attention_bwd.py:114:19 @[ attention_bwd.py:240:70 ]
	v_cvt_f16_f32_e32 v0, v0
	v_cvt_f16_f32_e32 v1, v1
	.loc	1 110 34                        ; attention_bwd.py:110:34 @[ attention_bwd.py:240:70 ]
	v_cndmask_b32_e32 v4, 0, v6, vcc
	.loc	1 113 18                        ; attention_bwd.py:113:18 @[ attention_bwd.py:240:70 ]
	v_pk_mul_f32 v[2:3], v[4:5], v[2:3]
	.loc	1 114 19                        ; attention_bwd.py:114:19 @[ attention_bwd.py:240:70 ]
	s_nop 0
	v_cvt_f16_f32_e32 v2, v2
	v_cvt_f16_f32_e32 v3, v3
	ds_write_b16 v189, v0 offset:8192
	ds_write_b16 v189, v1 offset:8320
	;; [unrolled: 1-line block ×4, first 2 shown]
	s_waitcnt lgkmcnt(0)
	s_barrier
	ds_read_b64_tr_b16 v[108:109], v177 offset:8192
	ds_read_b64_tr_b16 v[110:111], v178 offset:9216
	.loc	1 102 21                        ; attention_bwd.py:102:21 @[ attention_bwd.py:240:70 ]
	ds_write_b16 v180, v48
	ds_write_b16 v180, v49 offset:1024
	ds_write_b16 v180, v50 offset:2048
	;; [unrolled: 1-line block ×3, first 2 shown]
	.loc	1 103 21                        ; attention_bwd.py:103:21 @[ attention_bwd.py:240:70 ]
	ds_write_b16 v180, v52 offset:4096
	ds_write_b16 v180, v53 offset:5120
	;; [unrolled: 1-line block ×4, first 2 shown]
	.loc	1 117 25                        ; attention_bwd.py:117:25 @[ attention_bwd.py:240:70 ]
	s_waitcnt lgkmcnt(8)
	v_mfma_f32_32x32x16_f16 v[0:15], v[104:107], v[108:111], 0
	.loc	1 120 19                        ; attention_bwd.py:120:19 @[ attention_bwd.py:240:70 ]
	v_lshl_add_u64 v[104:105], v[94:95], 0, s[38:39]
	.loc	1 102 21                        ; attention_bwd.py:102:21 @[ attention_bwd.py:240:70 ]
	global_load_ushort v48, v[46:47], off
	global_load_ushort v49, v[80:81], off
	;; [unrolled: 1-line block ×4, first 2 shown]
	.loc	1 117 25                        ; attention_bwd.py:117:25 @[ attention_bwd.py:240:70 ]
	s_waitcnt lgkmcnt(0)
	s_barrier
	scratch_load_dwordx2 v[58:59], off, off offset:288 ; 8-byte Folded Reload
	scratch_load_dwordx2 v[62:63], off, off offset:328 ; 8-byte Folded Reload
	.loc	1 121 19                        ; attention_bwd.py:121:19 @[ attention_bwd.py:240:70 ]
	v_lshl_add_u64 v[106:107], v[96:97], 0, s[38:39]
	v_lshl_add_u64 v[108:109], v[98:99], 0, s[38:39]
	v_lshl_add_u64 v[110:111], v[100:101], 0, s[38:39]
	.loc	1 103 21                        ; attention_bwd.py:103:21 @[ attention_bwd.py:240:70 ]
	global_load_ushort v52, v[106:107], off
	global_load_ushort v53, v[108:109], off
	;; [unrolled: 1-line block ×4, first 2 shown]
	.loc	1 102 21                        ; attention_bwd.py:102:21 @[ attention_bwd.py:240:70 ]
	ds_read_b64_tr_b16 v[94:95], v179
	ds_read_b64_tr_b16 v[96:97], v179 offset:128
	ds_read_b64_tr_b16 v[98:99], v179 offset:1024
	;; [unrolled: 1-line block ×3, first 2 shown]
	.loc	1 117 25                        ; attention_bwd.py:117:25 @[ attention_bwd.py:240:70 ]
	ds_read_b64 v[118:119], v182
	.loc	1 104 23                        ; attention_bwd.py:104:23 @[ attention_bwd.py:240:70 ]
	s_waitcnt lgkmcnt(3)
	v_mfma_f32_16x16x32_f16 v[94:97], v[94:97], v[30:33], 0
	.loc	1 102 21                        ; attention_bwd.py:102:21 @[ attention_bwd.py:240:70 ]
	ds_read_b64_tr_b16 v[112:113], v179 offset:2048
	ds_read_b64_tr_b16 v[114:115], v179 offset:2176
	.loc	1 117 25                        ; attention_bwd.py:117:25 @[ attention_bwd.py:240:70 ]
	ds_read_b64 v[116:117], v181
	.loc	1 103 21                        ; attention_bwd.py:103:21 @[ attention_bwd.py:240:70 ]
	ds_read_b64_tr_b16 v[224:225], v179 offset:5120
	ds_read_b64_tr_b16 v[226:227], v179 offset:5248
	ds_read_b64_tr_b16 v[228:229], v179 offset:6144
	ds_read_b64_tr_b16 v[230:231], v179 offset:6272
	.loc	1 104 23                        ; attention_bwd.py:104:23 @[ attention_bwd.py:240:70 ]
	s_waitcnt lgkmcnt(8)
	v_mfma_f32_16x16x32_f16 v[94:97], v[98:101], v[26:29], v[94:97]
	.loc	1 102 21                        ; attention_bwd.py:102:21 @[ attention_bwd.py:240:70 ]
	ds_read_b64_tr_b16 v[98:99], v179 offset:3072
	ds_read_b64_tr_b16 v[100:101], v179 offset:3200
	.loc	1 103 21                        ; attention_bwd.py:103:21 @[ attention_bwd.py:240:70 ]
	ds_read_b64_tr_b16 v[184:185], v179 offset:4096
	ds_read_b64_tr_b16 v[186:187], v179 offset:4224
	.loc	1 120 19                        ; attention_bwd.py:120:19 @[ attention_bwd.py:240:70 ]
	v_lshl_add_u64 v[46:47], v[46:47], 0, s[38:39]
	v_lshl_add_u64 v[80:81], v[80:81], 0, s[38:39]
	.loc	1 104 23                        ; attention_bwd.py:104:23 @[ attention_bwd.py:240:70 ]
	s_waitcnt lgkmcnt(9)
	v_mfma_f32_16x16x32_f16 v[94:97], v[112:115], v[22:25], v[94:97]
	.loc	1 120 19                        ; attention_bwd.py:120:19 @[ attention_bwd.py:240:70 ]
	v_lshl_add_u64 v[86:87], v[86:87], 0, s[38:39]
	.loc	1 121 19                        ; attention_bwd.py:121:19 @[ attention_bwd.py:240:70 ]
	v_lshl_add_u64 v[102:103], v[102:103], 0, s[38:39]
	s_waitcnt vmcnt(4)
	v_mov_b32_e32 v61, v63
	.loc	1 104 23                        ; attention_bwd.py:104:23 @[ attention_bwd.py:240:70 ]
	s_waitcnt lgkmcnt(2)
	v_mfma_f32_16x16x32_f16 v[94:97], v[98:101], v[18:21], v[94:97]
	.loc	1 112 24                        ; attention_bwd.py:112:24 @[ attention_bwd.py:240:70 ]
	s_waitcnt lgkmcnt(0)
	v_mfma_f32_16x16x32_f16 v[98:101], v[184:187], v[90:93], 0
	.loc	1 103 21                        ; attention_bwd.py:103:21 @[ attention_bwd.py:240:70 ]
	ds_read_b64_tr_b16 v[184:185], v179 offset:7168
	ds_read_b64_tr_b16 v[186:187], v179 offset:7296
	.loc	1 105 30                        ; attention_bwd.py:105:30 @[ attention_bwd.py:240:70 ]
	s_nop 3
	v_sub_f32_e32 v89, v94, v17
	v_sub_f32_e32 v112, v95, v17
	.loc	1 112 24                        ; attention_bwd.py:112:24 @[ attention_bwd.py:240:70 ]
	v_mfma_f32_16x16x32_f16 v[98:101], v[224:227], v[42:45], v[98:101]
	.loc	1 105 30                        ; attention_bwd.py:105:30 @[ attention_bwd.py:240:70 ]
	v_sub_f32_e32 v113, v96, v17
	v_sub_f32_e32 v114, v97, v17
	.loc	1 105 25 is_stmt 0              ; attention_bwd.py:105:25 @[ attention_bwd.py:240:70 ]
	v_exp_f32_e32 v89, v89
	.loc	1 112 24 is_stmt 1              ; attention_bwd.py:112:24 @[ attention_bwd.py:240:70 ]
	v_mfma_f32_16x16x32_f16 v[94:97], v[228:231], v[38:41], v[98:101]
	s_waitcnt lgkmcnt(0)
	v_mfma_f32_16x16x32_f16 v[94:97], v[184:187], v[34:37], v[94:97]
	.loc	1 105 25                        ; attention_bwd.py:105:25 @[ attention_bwd.py:240:70 ]
	s_nop 1
	v_exp_f32_e32 v98, v112
	.loc	1 108 30                        ; attention_bwd.py:108:30 @[ attention_bwd.py:240:70 ]
	v_or_b32_e32 v99, s0, v59
	.loc	1 105 25                        ; attention_bwd.py:105:25 @[ attention_bwd.py:240:70 ]
	v_exp_f32_e32 v101, v114
	.loc	1 108 30                        ; attention_bwd.py:108:30 @[ attention_bwd.py:240:70 ]
	v_or_b32_e32 v112, s0, v82
	.loc	1 110 34                        ; attention_bwd.py:110:34 @[ attention_bwd.py:240:70 ]
	v_cmp_ge_i32_e32 vcc, v61, v99
	.loc	1 105 25                        ; attention_bwd.py:105:25 @[ attention_bwd.py:240:70 ]
	v_exp_f32_e32 v100, v113
	.loc	1 113 23                        ; attention_bwd.py:113:23 @[ attention_bwd.py:240:70 ]
	v_pk_add_f32 v[94:95], v[94:95], v[16:17] op_sel_hi:[1,0] neg_lo:[0,1] neg_hi:[0,1]
	.loc	1 110 34                        ; attention_bwd.py:110:34 @[ attention_bwd.py:240:70 ]
	v_cndmask_b32_e32 v99, 0, v98, vcc
	v_cmp_ge_i32_e32 vcc, v60, v112
	.loc	1 113 23                        ; attention_bwd.py:113:23 @[ attention_bwd.py:240:70 ]
	v_pk_add_f32 v[96:97], v[96:97], v[16:17] op_sel_hi:[1,0] neg_lo:[0,1] neg_hi:[0,1]
	.loc	1 110 34                        ; attention_bwd.py:110:34 @[ attention_bwd.py:240:70 ]
	s_nop 0
	v_cndmask_b32_e32 v98, 0, v89, vcc
	.loc	1 108 30                        ; attention_bwd.py:108:30 @[ attention_bwd.py:240:70 ]
	v_or_b32_e32 v89, s0, v57
	.loc	1 113 18                        ; attention_bwd.py:113:18 @[ attention_bwd.py:240:70 ]
	v_pk_mul_f32 v[94:95], v[98:99], v[94:95]
	.loc	1 108 30                        ; attention_bwd.py:108:30 @[ attention_bwd.py:240:70 ]
	v_or_b32_e32 v98, s0, v56
	.loc	1 110 34                        ; attention_bwd.py:110:34 @[ attention_bwd.py:240:70 ]
	v_cmp_ge_i32_e32 vcc, v61, v89
	.loc	1 114 19                        ; attention_bwd.py:114:19 @[ attention_bwd.py:240:70 ]
	v_cvt_f16_f32_e32 v89, v94
	v_cvt_f16_f32_e32 v94, v95
	.loc	1 110 34                        ; attention_bwd.py:110:34 @[ attention_bwd.py:240:70 ]
	v_cndmask_b32_e32 v99, 0, v101, vcc
	v_cmp_ge_i32_e32 vcc, v60, v98
	.loc	1 119 18                        ; attention_bwd.py:119:18 @[ attention_bwd.py:240:70 ]
	s_or_b32 s0, s9, 32
	.loc	1 110 34                        ; attention_bwd.py:110:34 @[ attention_bwd.py:240:70 ]
	s_nop 0
	v_cndmask_b32_e32 v98, 0, v100, vcc
	.loc	1 113 18                        ; attention_bwd.py:113:18 @[ attention_bwd.py:240:70 ]
	v_pk_mul_f32 v[96:97], v[98:99], v[96:97]
	.loc	1 121 19                        ; attention_bwd.py:121:19 @[ attention_bwd.py:240:70 ]
	v_lshl_add_u64 v[98:99], v[108:109], 0, s[38:39]
	.loc	1 114 19                        ; attention_bwd.py:114:19 @[ attention_bwd.py:240:70 ]
	v_cvt_f16_f32_e32 v95, v96
	v_cvt_f16_f32_e32 v96, v97
	ds_write_b16 v189, v89 offset:8192
	ds_write_b16 v189, v94 offset:8320
	;; [unrolled: 1-line block ×4, first 2 shown]
	s_waitcnt lgkmcnt(0)
	s_barrier
	ds_read_b64_tr_b16 v[94:95], v177 offset:8192
	ds_read_b64_tr_b16 v[96:97], v178 offset:9216
	.loc	1 117 25                        ; attention_bwd.py:117:25 @[ attention_bwd.py:240:70 ]
	s_waitcnt lgkmcnt(0)
	v_mfma_f32_32x32x16_f16 v[0:15], v[116:119], v[94:97], v[0:15]
	.loc	1 102 21                        ; attention_bwd.py:102:21 @[ attention_bwd.py:240:70 ]
	ds_write_b16 v180, v48
	ds_write_b16 v180, v49 offset:1024
	ds_write_b16 v180, v50 offset:2048
	;; [unrolled: 1-line block ×3, first 2 shown]
	.loc	1 103 21                        ; attention_bwd.py:103:21 @[ attention_bwd.py:240:70 ]
	s_waitcnt vmcnt(3)
	ds_write_b16 v180, v52 offset:4096
	s_waitcnt vmcnt(2)
	ds_write_b16 v180, v53 offset:5120
	s_waitcnt vmcnt(1)
	ds_write_b16 v180, v54 offset:6144
	s_waitcnt vmcnt(0)
	ds_write_b16 v180, v55 offset:7168
	.loc	1 121 19                        ; attention_bwd.py:121:19 @[ attention_bwd.py:240:70 ]
	v_lshl_add_u64 v[96:97], v[106:107], 0, s[38:39]
	.loc	1 120 19                        ; attention_bwd.py:120:19 @[ attention_bwd.py:240:70 ]
	v_lshl_add_u64 v[94:95], v[104:105], 0, s[38:39]
	.loc	1 121 19                        ; attention_bwd.py:121:19 @[ attention_bwd.py:240:70 ]
	v_lshl_add_u64 v[100:101], v[110:111], 0, s[38:39]
	.loc	1 102 21                        ; attention_bwd.py:102:21 @[ attention_bwd.py:240:70 ]
	global_load_ushort v48, v[46:47], off
	global_load_ushort v49, v[80:81], off
	;; [unrolled: 1-line block ×4, first 2 shown]
	.loc	1 117 25                        ; attention_bwd.py:117:25 @[ attention_bwd.py:240:70 ]
	s_waitcnt lgkmcnt(0)
	s_barrier
	.loc	1 103 21                        ; attention_bwd.py:103:21 @[ attention_bwd.py:240:70 ]
	global_load_ushort v52, v[96:97], off
	global_load_ushort v53, v[98:99], off
	global_load_ushort v54, v[100:101], off
	global_load_ushort v55, v[102:103], off
	.loc	1 102 21                        ; attention_bwd.py:102:21 @[ attention_bwd.py:240:70 ]
	ds_read_b64_tr_b16 v[104:105], v179
	ds_read_b64_tr_b16 v[106:107], v179 offset:128
	ds_read_b64_tr_b16 v[98:99], v179 offset:1024
	;; [unrolled: 1-line block ×3, first 2 shown]
	.loc	1 117 25                        ; attention_bwd.py:117:25 @[ attention_bwd.py:240:70 ]
	ds_read_b64 v[108:109], v182
	.loc	1 104 23                        ; attention_bwd.py:104:23 @[ attention_bwd.py:240:70 ]
	s_waitcnt lgkmcnt(3)
	v_mfma_f32_16x16x32_f16 v[94:97], v[104:107], v[30:33], 0
	.loc	1 102 21                        ; attention_bwd.py:102:21 @[ attention_bwd.py:240:70 ]
	ds_read_b64_tr_b16 v[102:103], v179 offset:2048
	ds_read_b64_tr_b16 v[104:105], v179 offset:2176
	.loc	1 103 21                        ; attention_bwd.py:103:21 @[ attention_bwd.py:240:70 ]
	ds_read_b64_tr_b16 v[114:115], v179 offset:6144
	ds_read_b64_tr_b16 v[116:117], v179 offset:6272
	.loc	1 108 30                        ; attention_bwd.py:108:30 @[ attention_bwd.py:240:70 ]
	v_or_b32_e32 v89, s0, v56
	.loc	1 104 23                        ; attention_bwd.py:104:23 @[ attention_bwd.py:240:70 ]
	s_waitcnt lgkmcnt(5)
	v_mfma_f32_16x16x32_f16 v[94:97], v[98:101], v[26:29], v[94:97]
	.loc	1 102 21                        ; attention_bwd.py:102:21 @[ attention_bwd.py:240:70 ]
	ds_read_b64_tr_b16 v[98:99], v179 offset:3072
	ds_read_b64_tr_b16 v[100:101], v179 offset:3200
	.loc	1 103 21                        ; attention_bwd.py:103:21 @[ attention_bwd.py:240:70 ]
	ds_read_b64_tr_b16 v[110:111], v179 offset:4096
	ds_read_b64_tr_b16 v[112:113], v179 offset:4224
	.loc	1 104 23                        ; attention_bwd.py:104:23 @[ attention_bwd.py:240:70 ]
	s_waitcnt lgkmcnt(6)
	v_mfma_f32_16x16x32_f16 v[94:97], v[102:105], v[22:25], v[94:97]
	.loc	1 117 25                        ; attention_bwd.py:117:25 @[ attention_bwd.py:240:70 ]
	ds_read_b64 v[106:107], v181
	.loc	1 103 21                        ; attention_bwd.py:103:21 @[ attention_bwd.py:240:70 ]
	ds_read_b64_tr_b16 v[102:103], v179 offset:5120
	ds_read_b64_tr_b16 v[104:105], v179 offset:5248
	.loc	1 104 23                        ; attention_bwd.py:104:23 @[ attention_bwd.py:240:70 ]
	s_waitcnt lgkmcnt(5)
	v_mfma_f32_16x16x32_f16 v[94:97], v[98:101], v[18:21], v[94:97]
	.loc	1 112 24                        ; attention_bwd.py:112:24 @[ attention_bwd.py:240:70 ]
	s_waitcnt lgkmcnt(3)
	v_mfma_f32_16x16x32_f16 v[98:101], v[110:113], v[90:93], 0
	.loc	1 103 21                        ; attention_bwd.py:103:21 @[ attention_bwd.py:240:70 ]
	ds_read_b64_tr_b16 v[110:111], v179 offset:7168
	ds_read_b64_tr_b16 v[112:113], v179 offset:7296
	.loc	1 105 30                        ; attention_bwd.py:105:30 @[ attention_bwd.py:240:70 ]
	s_nop 3
	v_sub_f32_e32 v46, v94, v17
	v_sub_f32_e32 v47, v95, v17
	.loc	1 112 24                        ; attention_bwd.py:112:24 @[ attention_bwd.py:240:70 ]
	s_waitcnt lgkmcnt(2)
	v_mfma_f32_16x16x32_f16 v[98:101], v[102:105], v[42:45], v[98:101]
	.loc	1 105 30                        ; attention_bwd.py:105:30 @[ attention_bwd.py:240:70 ]
	v_sub_f32_e32 v80, v96, v17
	v_sub_f32_e32 v81, v97, v17
	.loc	1 105 25 is_stmt 0              ; attention_bwd.py:105:25 @[ attention_bwd.py:240:70 ]
	v_exp_f32_e32 v47, v47
	.loc	1 112 24 is_stmt 1              ; attention_bwd.py:112:24 @[ attention_bwd.py:240:70 ]
	v_mfma_f32_16x16x32_f16 v[94:97], v[114:117], v[38:41], v[98:101]
	.loc	1 105 25                        ; attention_bwd.py:105:25 @[ attention_bwd.py:240:70 ]
	v_exp_f32_e32 v46, v46
	v_exp_f32_e32 v86, v80
	.loc	1 108 30                        ; attention_bwd.py:108:30 @[ attention_bwd.py:240:70 ]
	v_or_b32_e32 v80, s0, v59
	.loc	1 112 24                        ; attention_bwd.py:112:24 @[ attention_bwd.py:240:70 ]
	s_waitcnt lgkmcnt(0)
	v_mfma_f32_16x16x32_f16 v[94:97], v[110:113], v[34:37], v[94:97]
	.loc	1 105 25                        ; attention_bwd.py:105:25 @[ attention_bwd.py:240:70 ]
	v_exp_f32_e32 v87, v81
	.loc	1 108 30                        ; attention_bwd.py:108:30 @[ attention_bwd.py:240:70 ]
	v_or_b32_e32 v81, s0, v82
	.loc	1 110 34                        ; attention_bwd.py:110:34 @[ attention_bwd.py:240:70 ]
	v_cmp_ge_i32_e32 vcc, v61, v80
	s_nop 1
	v_cndmask_b32_e32 v47, 0, v47, vcc
	v_cmp_ge_i32_e32 vcc, v60, v81
	.loc	1 113 23                        ; attention_bwd.py:113:23 @[ attention_bwd.py:240:70 ]
	s_nop 0
	v_pk_add_f32 v[80:81], v[94:95], v[16:17] op_sel_hi:[1,0] neg_lo:[0,1] neg_hi:[0,1]
	.loc	1 110 34                        ; attention_bwd.py:110:34 @[ attention_bwd.py:240:70 ]
	v_cndmask_b32_e32 v46, 0, v46, vcc
	.loc	1 113 18                        ; attention_bwd.py:113:18 @[ attention_bwd.py:240:70 ]
	v_pk_mul_f32 v[46:47], v[46:47], v[80:81]
	.loc	1 108 30                        ; attention_bwd.py:108:30 @[ attention_bwd.py:240:70 ]
	v_or_b32_e32 v80, s0, v57
	.loc	1 110 34                        ; attention_bwd.py:110:34 @[ attention_bwd.py:240:70 ]
	v_cmp_ge_i32_e32 vcc, v61, v80
	.loc	1 114 19                        ; attention_bwd.py:114:19 @[ attention_bwd.py:240:70 ]
	v_cvt_f16_f32_e32 v46, v46
	v_cvt_f16_f32_e32 v47, v47
	.loc	1 110 34                        ; attention_bwd.py:110:34 @[ attention_bwd.py:240:70 ]
	v_cndmask_b32_e32 v81, 0, v87, vcc
	v_cmp_ge_i32_e32 vcc, v60, v89
	.loc	1 119 18                        ; attention_bwd.py:119:18 @[ attention_bwd.py:240:70 ]
	s_or_b32 s0, s9, 48
.Ltmp100:
	.loc	1 101 25                        ; attention_bwd.py:101:25 @[ attention_bwd.py:253:40 ]
	s_cmp_gt_i32 s8, 0
.Ltmp101:
	.loc	1 110 34                        ; attention_bwd.py:110:34 @[ attention_bwd.py:240:70 ]
	v_cndmask_b32_e32 v80, 0, v86, vcc
	.loc	1 113 23                        ; attention_bwd.py:113:23 @[ attention_bwd.py:240:70 ]
	v_pk_add_f32 v[86:87], v[96:97], v[16:17] op_sel_hi:[1,0] neg_lo:[0,1] neg_hi:[0,1]
.Ltmp102:
	.loc	1 101 25                        ; attention_bwd.py:101:25 @[ attention_bwd.py:253:40 ]
	s_cselect_b64 s[2:3], -1, 0
.Ltmp103:
	.loc	1 113 18                        ; attention_bwd.py:113:18 @[ attention_bwd.py:240:70 ]
	v_pk_mul_f32 v[80:81], v[80:81], v[86:87]
.Ltmp104:
	.loc	1 101 25                        ; attention_bwd.py:101:25 @[ attention_bwd.py:253:40 ]
	s_cmp_lt_i32 s8, 1
.Ltmp105:
	.loc	1 114 19                        ; attention_bwd.py:114:19 @[ attention_bwd.py:240:70 ]
	v_cvt_f16_f32_e32 v80, v80
	v_cvt_f16_f32_e32 v81, v81
	ds_write_b16 v189, v46 offset:8192
	ds_write_b16 v189, v47 offset:8320
	ds_write_b16 v200, v80 offset:8448
	ds_write_b16 v200, v81 offset:8576
	s_waitcnt lgkmcnt(0)
	s_barrier
	ds_read_b64_tr_b16 v[94:95], v177 offset:8192
	ds_read_b64_tr_b16 v[96:97], v178 offset:9216
	.loc	1 117 25                        ; attention_bwd.py:117:25 @[ attention_bwd.py:240:70 ]
	s_waitcnt lgkmcnt(0)
	v_mfma_f32_32x32x16_f16 v[0:15], v[106:109], v[94:97], v[0:15]
	.loc	1 102 21                        ; attention_bwd.py:102:21 @[ attention_bwd.py:240:70 ]
	s_waitcnt vmcnt(7)
	ds_write_b16 v180, v48
	s_waitcnt vmcnt(6)
	ds_write_b16 v180, v49 offset:1024
	s_waitcnt vmcnt(5)
	ds_write_b16 v180, v50 offset:2048
	;; [unrolled: 2-line block ×3, first 2 shown]
	.loc	1 103 21                        ; attention_bwd.py:103:21 @[ attention_bwd.py:240:70 ]
	s_waitcnt vmcnt(3)
	ds_write_b16 v180, v52 offset:4096
	s_waitcnt vmcnt(2)
	ds_write_b16 v180, v53 offset:5120
	;; [unrolled: 2-line block ×4, first 2 shown]
	.loc	1 117 25                        ; attention_bwd.py:117:25 @[ attention_bwd.py:240:70 ]
	s_waitcnt lgkmcnt(0)
	s_barrier
	.loc	1 102 21                        ; attention_bwd.py:102:21 @[ attention_bwd.py:240:70 ]
	ds_read_b64_tr_b16 v[94:95], v179
	ds_read_b64_tr_b16 v[96:97], v179 offset:128
	ds_read_b64_tr_b16 v[98:99], v179 offset:1024
	;; [unrolled: 1-line block ×3, first 2 shown]
	.loc	1 117 25                        ; attention_bwd.py:117:25 @[ attention_bwd.py:240:70 ]
	ds_read_b64 v[102:103], v182
	.loc	1 104 23                        ; attention_bwd.py:104:23 @[ attention_bwd.py:240:70 ]
	s_waitcnt lgkmcnt(3)
	v_mfma_f32_16x16x32_f16 v[30:33], v[94:97], v[30:33], 0
	.loc	1 102 21                        ; attention_bwd.py:102:21 @[ attention_bwd.py:240:70 ]
	ds_read_b64_tr_b16 v[94:95], v179 offset:2048
	ds_read_b64_tr_b16 v[96:97], v179 offset:2176
	.loc	1 104 23                        ; attention_bwd.py:104:23 @[ attention_bwd.py:240:70 ]
	s_waitcnt lgkmcnt(3)
	v_mfma_f32_16x16x32_f16 v[26:29], v[98:101], v[26:29], v[30:33]
	.loc	1 102 21                        ; attention_bwd.py:102:21 @[ attention_bwd.py:240:70 ]
	s_nop 3
	ds_read_b64_tr_b16 v[30:31], v179 offset:3072
	ds_read_b64_tr_b16 v[32:33], v179 offset:3200
	.loc	1 103 21                        ; attention_bwd.py:103:21 @[ attention_bwd.py:240:70 ]
	ds_read_b64_tr_b16 v[104:105], v179 offset:4096
	ds_read_b64_tr_b16 v[106:107], v179 offset:4224
	.loc	1 104 23                        ; attention_bwd.py:104:23 @[ attention_bwd.py:240:70 ]
	s_waitcnt lgkmcnt(4)
	v_mfma_f32_16x16x32_f16 v[22:25], v[94:97], v[22:25], v[26:29]
	.loc	1 117 25                        ; attention_bwd.py:117:25 @[ attention_bwd.py:240:70 ]
	ds_read_b64 v[100:101], v181
	.loc	1 103 21                        ; attention_bwd.py:103:21 @[ attention_bwd.py:240:70 ]
	ds_read_b64_tr_b16 v[94:95], v179 offset:5120
	ds_read_b64_tr_b16 v[96:97], v179 offset:5248
	.loc	1 104 23                        ; attention_bwd.py:104:23 @[ attention_bwd.py:240:70 ]
	s_waitcnt lgkmcnt(5)
	v_mfma_f32_16x16x32_f16 v[18:21], v[30:33], v[18:21], v[22:25]
	.loc	1 103 21                        ; attention_bwd.py:103:21 @[ attention_bwd.py:240:70 ]
	ds_read_b64_tr_b16 v[30:31], v179 offset:6144
	ds_read_b64_tr_b16 v[32:33], v179 offset:6272
	.loc	1 112 24                        ; attention_bwd.py:112:24 @[ attention_bwd.py:240:70 ]
	s_waitcnt lgkmcnt(5)
	v_mfma_f32_16x16x32_f16 v[22:25], v[104:107], v[90:93], 0
	.loc	1 103 21                        ; attention_bwd.py:103:21 @[ attention_bwd.py:240:70 ]
	ds_read_b64_tr_b16 v[90:91], v179 offset:7168
	ds_read_b64_tr_b16 v[92:93], v179 offset:7296
	.loc	1 105 30                        ; attention_bwd.py:105:30 @[ attention_bwd.py:240:70 ]
	s_nop 1
	v_sub_f32_e32 v18, v18, v17
	v_sub_f32_e32 v26, v19, v17
	.loc	1 112 24                        ; attention_bwd.py:112:24 @[ attention_bwd.py:240:70 ]
	s_waitcnt lgkmcnt(4)
	v_mfma_f32_16x16x32_f16 v[22:25], v[94:97], v[42:45], v[22:25]
	.loc	1 105 30                        ; attention_bwd.py:105:30 @[ attention_bwd.py:240:70 ]
	v_sub_f32_e32 v27, v20, v17
	v_sub_f32_e32 v17, v21, v17
	.loc	1 105 25 is_stmt 0              ; attention_bwd.py:105:25 @[ attention_bwd.py:240:70 ]
	v_exp_f32_e32 v28, v18
	.loc	1 112 24 is_stmt 1              ; attention_bwd.py:112:24 @[ attention_bwd.py:240:70 ]
	s_waitcnt lgkmcnt(2)
	v_mfma_f32_16x16x32_f16 v[18:21], v[30:33], v[38:41], v[22:25]
	.loc	1 105 25                        ; attention_bwd.py:105:25 @[ attention_bwd.py:240:70 ]
	v_exp_f32_e32 v17, v17
	s_nop 1
	v_exp_f32_e32 v22, v26
	.loc	1 112 24                        ; attention_bwd.py:112:24 @[ attention_bwd.py:240:70 ]
	s_waitcnt lgkmcnt(0)
	v_mfma_f32_16x16x32_f16 v[18:21], v[90:93], v[34:37], v[18:21]
	.loc	1 108 30                        ; attention_bwd.py:108:30 @[ attention_bwd.py:240:70 ]
	v_or_b32_e32 v23, s0, v59
	v_or_b32_e32 v25, s0, v82
	.loc	1 110 34                        ; attention_bwd.py:110:34 @[ attention_bwd.py:240:70 ]
	v_cmp_ge_i32_e32 vcc, v61, v23
	.loc	1 105 25                        ; attention_bwd.py:105:25 @[ attention_bwd.py:240:70 ]
	v_exp_f32_e32 v24, v27
	.loc	1 110 34                        ; attention_bwd.py:110:34 @[ attention_bwd.py:240:70 ]
	s_nop 0
	v_cndmask_b32_e32 v23, 0, v22, vcc
	v_cmp_ge_i32_e32 vcc, v60, v25
	.loc	1 113 23                        ; attention_bwd.py:113:23 @[ attention_bwd.py:240:70 ]
	s_nop 0
	v_pk_add_f32 v[18:19], v[18:19], v[16:17] op_sel_hi:[1,0] neg_lo:[0,1] neg_hi:[0,1]
	.loc	1 108 30                        ; attention_bwd.py:108:30 @[ attention_bwd.py:240:70 ]
	v_or_b32_e32 v25, s0, v56
	.loc	1 110 34                        ; attention_bwd.py:110:34 @[ attention_bwd.py:240:70 ]
	v_cndmask_b32_e32 v22, 0, v28, vcc
	.loc	1 113 18                        ; attention_bwd.py:113:18 @[ attention_bwd.py:240:70 ]
	v_pk_mul_f32 v[18:19], v[22:23], v[18:19]
	.loc	1 108 30                        ; attention_bwd.py:108:30 @[ attention_bwd.py:240:70 ]
	v_or_b32_e32 v22, s0, v57
	.loc	1 110 34                        ; attention_bwd.py:110:34 @[ attention_bwd.py:240:70 ]
	v_cmp_ge_i32_e32 vcc, v61, v22
	.loc	1 114 19                        ; attention_bwd.py:114:19 @[ attention_bwd.py:240:70 ]
	v_cvt_f16_f32_e32 v18, v18
	v_cvt_f16_f32_e32 v19, v19
	.loc	1 110 34                        ; attention_bwd.py:110:34 @[ attention_bwd.py:240:70 ]
	v_cndmask_b32_e32 v23, 0, v17, vcc
	v_cmp_ge_i32_e32 vcc, v60, v25
	.loc	1 113 23                        ; attention_bwd.py:113:23 @[ attention_bwd.py:240:70 ]
	v_pk_add_f32 v[16:17], v[20:21], v[16:17] op_sel_hi:[1,0] neg_lo:[0,1] neg_hi:[0,1]
	.loc	1 110 34                        ; attention_bwd.py:110:34 @[ attention_bwd.py:240:70 ]
	v_mov_b32_e32 v20, 0
	v_cndmask_b32_e32 v22, 0, v24, vcc
	.loc	1 113 18                        ; attention_bwd.py:113:18 @[ attention_bwd.py:240:70 ]
	v_pk_mul_f32 v[16:17], v[22:23], v[16:17]
	.loc	1 114 19                        ; attention_bwd.py:114:19 @[ attention_bwd.py:240:70 ]
	s_nop 0
	v_cvt_f16_f32_e32 v16, v16
	v_cvt_f16_f32_e32 v17, v17
	ds_write_b16 v189, v18 offset:8192
	ds_write_b16 v189, v19 offset:8320
	;; [unrolled: 1-line block ×4, first 2 shown]
	s_waitcnt lgkmcnt(0)
	s_barrier
	ds_read_b64_tr_b16 v[16:17], v177 offset:8192
	ds_read_b64_tr_b16 v[18:19], v178 offset:9216
	.loc	1 117 25                        ; attention_bwd.py:117:25 @[ attention_bwd.py:240:70 ]
	s_waitcnt lgkmcnt(0)
	v_mfma_f32_32x32x16_f16 v[0:15], v[100:103], v[16:19], v[0:15]
.Ltmp106:
	.loc	1 93 36                         ; attention_bwd.py:93:36 @[ attention_bwd.py:253:40 ]
	v_mul_lo_u32 v16, s28, v183
	.loc	1 93 18 is_stmt 0               ; attention_bwd.py:93:18 @[ attention_bwd.py:253:40 ]
	v_ashrrev_i32_e32 v17, 31, v16
	v_lshl_add_u64 v[18:19], v[16:17], 1, s[34:35]
	.loc	1 102 21 is_stmt 1              ; attention_bwd.py:102:21 @[ attention_bwd.py:253:40 ]
	s_cbranch_scc1 .LBB0_127
; %bb.126:
	.loc	1 93 49                         ; attention_bwd.py:93:49 @[ attention_bwd.py:253:40 ]
	v_lshl_add_u64 v[20:21], v[174:175], 1, v[18:19]
	.loc	1 102 21                        ; attention_bwd.py:102:21 @[ attention_bwd.py:253:40 ]
	global_load_ushort v20, v[20:21], off
.LBB0_127:
	.loc	1 0 21 is_stmt 0                ; attention_bwd.py:0:21
	s_nop 0
	scratch_load_dwordx2 v[34:35], off, off offset:232 ; 8-byte Folded Reload
	scratch_load_dwordx2 v[36:37], off, off offset:240 ; 8-byte Folded Reload
	;; [unrolled: 1-line block ×4, first 2 shown]
	.loc	1 102 21                        ; attention_bwd.py:102:21 @[ attention_bwd.py:253:40 ]
	v_cndmask_b32_e64 v21, 0, 1, s[2:3]
	v_cmp_ne_u32_e64 s[0:1], 1, v21
	s_andn2_b64 vcc, exec, s[2:3]
	s_cbranch_vccnz .LBB0_143
; %bb.128:
	.loc	1 93 49 is_stmt 1               ; attention_bwd.py:93:49 @[ attention_bwd.py:253:40 ]
	v_lshl_add_u64 v[22:23], v[250:251], 1, v[18:19]
	.loc	1 102 21                        ; attention_bwd.py:102:21 @[ attention_bwd.py:253:40 ]
	global_load_ushort v21, v[22:23], off
	s_and_b64 vcc, exec, s[0:1]
	s_cbranch_vccnz .LBB0_144
.LBB0_129:
	.loc	1 93 49                         ; attention_bwd.py:93:49 @[ attention_bwd.py:253:40 ]
	v_lshl_add_u64 v[22:23], v[252:253], 1, v[18:19]
	.loc	1 102 21                        ; attention_bwd.py:102:21 @[ attention_bwd.py:253:40 ]
	global_load_ushort v22, v[22:23], off
	s_and_b64 vcc, exec, s[0:1]
	s_cbranch_vccnz .LBB0_145
.LBB0_130:
	.loc	1 93 49                         ; attention_bwd.py:93:49 @[ attention_bwd.py:253:40 ]
	v_lshl_add_u64 v[24:25], v[254:255], 1, v[18:19]
	.loc	1 102 21                        ; attention_bwd.py:102:21 @[ attention_bwd.py:253:40 ]
	global_load_ushort v23, v[24:25], off
	s_and_b64 vcc, exec, s[0:1]
	s_cbranch_vccnz .LBB0_146
.LBB0_131:
	.loc	1 93 49                         ; attention_bwd.py:93:49 @[ attention_bwd.py:253:40 ]
	s_waitcnt vmcnt(3)
	v_lshl_add_u64 v[24:25], v[34:35], 1, v[18:19]
	.loc	1 102 21                        ; attention_bwd.py:102:21 @[ attention_bwd.py:253:40 ]
	global_load_ushort v24, v[24:25], off
	s_and_b64 vcc, exec, s[0:1]
	s_cbranch_vccnz .LBB0_147
.LBB0_132:
	.loc	1 93 49                         ; attention_bwd.py:93:49 @[ attention_bwd.py:253:40 ]
	s_waitcnt vmcnt(2)
	v_lshl_add_u64 v[26:27], v[36:37], 1, v[18:19]
	.loc	1 102 21                        ; attention_bwd.py:102:21 @[ attention_bwd.py:253:40 ]
	global_load_ushort v25, v[26:27], off
	s_and_b64 vcc, exec, s[0:1]
	s_cbranch_vccnz .LBB0_148
.LBB0_133:
	.loc	1 93 49                         ; attention_bwd.py:93:49 @[ attention_bwd.py:253:40 ]
	s_waitcnt vmcnt(1)
	v_lshl_add_u64 v[26:27], v[38:39], 1, v[18:19]
	.loc	1 102 21                        ; attention_bwd.py:102:21 @[ attention_bwd.py:253:40 ]
	global_load_ushort v26, v[26:27], off
	s_and_b64 vcc, exec, s[0:1]
	s_cbranch_vccnz .LBB0_149
.LBB0_134:
	.loc	1 93 49                         ; attention_bwd.py:93:49 @[ attention_bwd.py:253:40 ]
	s_waitcnt vmcnt(0)
	v_lshl_add_u64 v[18:19], v[40:41], 1, v[18:19]
	.loc	1 102 21                        ; attention_bwd.py:102:21 @[ attention_bwd.py:253:40 ]
	global_load_ushort v27, v[18:19], off
	.loc	1 103 21                        ; attention_bwd.py:103:21 @[ attention_bwd.py:253:40 ]
	s_and_b64 vcc, exec, s[0:1]
	.loc	1 94 18                         ; attention_bwd.py:94:18 @[ attention_bwd.py:253:40 ]
	v_lshl_add_u64 v[18:19], v[16:17], 1, s[26:27]
	.loc	1 103 21                        ; attention_bwd.py:103:21 @[ attention_bwd.py:253:40 ]
	s_cbranch_vccnz .LBB0_150
.LBB0_135:
	.loc	1 94 49                         ; attention_bwd.py:94:49 @[ attention_bwd.py:253:40 ]
	v_lshl_add_u64 v[28:29], v[174:175], 1, v[18:19]
	.loc	1 103 21                        ; attention_bwd.py:103:21 @[ attention_bwd.py:253:40 ]
	global_load_ushort v28, v[28:29], off
	s_and_b64 vcc, exec, s[0:1]
	s_cbranch_vccnz .LBB0_151
.LBB0_136:
	.loc	1 94 49                         ; attention_bwd.py:94:49 @[ attention_bwd.py:253:40 ]
	v_lshl_add_u64 v[30:31], v[250:251], 1, v[18:19]
	.loc	1 103 21                        ; attention_bwd.py:103:21 @[ attention_bwd.py:253:40 ]
	global_load_ushort v29, v[30:31], off
	s_and_b64 vcc, exec, s[0:1]
	s_cbranch_vccnz .LBB0_152
.LBB0_137:
	.loc	1 94 49                         ; attention_bwd.py:94:49 @[ attention_bwd.py:253:40 ]
	v_lshl_add_u64 v[30:31], v[252:253], 1, v[18:19]
	.loc	1 103 21                        ; attention_bwd.py:103:21 @[ attention_bwd.py:253:40 ]
	global_load_ushort v30, v[30:31], off
	s_and_b64 vcc, exec, s[0:1]
	s_cbranch_vccnz .LBB0_153
.LBB0_138:
	.loc	1 94 49                         ; attention_bwd.py:94:49 @[ attention_bwd.py:253:40 ]
	v_lshl_add_u64 v[32:33], v[254:255], 1, v[18:19]
	.loc	1 103 21                        ; attention_bwd.py:103:21 @[ attention_bwd.py:253:40 ]
	global_load_ushort v31, v[32:33], off
	s_and_b64 vcc, exec, s[0:1]
	s_cbranch_vccnz .LBB0_154
.LBB0_139:
	.loc	1 94 49                         ; attention_bwd.py:94:49 @[ attention_bwd.py:253:40 ]
	s_waitcnt vmcnt(3)
	v_lshl_add_u64 v[32:33], v[34:35], 1, v[18:19]
	.loc	1 103 21                        ; attention_bwd.py:103:21 @[ attention_bwd.py:253:40 ]
	global_load_ushort v32, v[32:33], off
	s_and_b64 vcc, exec, s[0:1]
	s_cbranch_vccnz .LBB0_155
.LBB0_140:
	.loc	1 94 49                         ; attention_bwd.py:94:49 @[ attention_bwd.py:253:40 ]
	s_waitcnt vmcnt(2)
	v_lshl_add_u64 v[34:35], v[36:37], 1, v[18:19]
	.loc	1 103 21                        ; attention_bwd.py:103:21 @[ attention_bwd.py:253:40 ]
	global_load_ushort v33, v[34:35], off
	s_and_b64 vcc, exec, s[0:1]
	s_cbranch_vccnz .LBB0_156
.LBB0_141:
	.loc	1 94 49                         ; attention_bwd.py:94:49 @[ attention_bwd.py:253:40 ]
	s_waitcnt vmcnt(1)
	v_lshl_add_u64 v[34:35], v[38:39], 1, v[18:19]
	.loc	1 103 21                        ; attention_bwd.py:103:21 @[ attention_bwd.py:253:40 ]
	global_load_ushort v34, v[34:35], off
	s_and_b64 vcc, exec, s[0:1]
	s_cbranch_vccnz .LBB0_157
.LBB0_142:
	.loc	1 94 49                         ; attention_bwd.py:94:49 @[ attention_bwd.py:253:40 ]
	s_waitcnt vmcnt(0)
	v_lshl_add_u64 v[18:19], v[40:41], 1, v[18:19]
	.loc	1 103 21                        ; attention_bwd.py:103:21 @[ attention_bwd.py:253:40 ]
	global_load_ushort v18, v[18:19], off
	s_branch .LBB0_158
.LBB0_143:
	.loc	1 0 21 is_stmt 0                ; attention_bwd.py:0:21
	v_mov_b32_e32 v21, 0
	.loc	1 102 21 is_stmt 1              ; attention_bwd.py:102:21 @[ attention_bwd.py:253:40 ]
	s_and_b64 vcc, exec, s[0:1]
	s_cbranch_vccz .LBB0_129
.LBB0_144:
	.loc	1 0 21 is_stmt 0                ; attention_bwd.py:0:21
	v_mov_b32_e32 v22, 0
	.loc	1 102 21                        ; attention_bwd.py:102:21 @[ attention_bwd.py:253:40 ]
	s_and_b64 vcc, exec, s[0:1]
	s_cbranch_vccz .LBB0_130
.LBB0_145:
	.loc	1 0 21                          ; attention_bwd.py:0:21
	v_mov_b32_e32 v23, 0
	.loc	1 102 21                        ; attention_bwd.py:102:21 @[ attention_bwd.py:253:40 ]
	s_and_b64 vcc, exec, s[0:1]
	s_cbranch_vccz .LBB0_131
.LBB0_146:
	.loc	1 0 21                          ; attention_bwd.py:0:21
	v_mov_b32_e32 v24, 0
	.loc	1 102 21                        ; attention_bwd.py:102:21 @[ attention_bwd.py:253:40 ]
	s_and_b64 vcc, exec, s[0:1]
	s_cbranch_vccz .LBB0_132
.LBB0_147:
	.loc	1 0 21                          ; attention_bwd.py:0:21
	v_mov_b32_e32 v25, 0
	.loc	1 102 21                        ; attention_bwd.py:102:21 @[ attention_bwd.py:253:40 ]
	s_and_b64 vcc, exec, s[0:1]
	s_cbranch_vccz .LBB0_133
.LBB0_148:
	.loc	1 0 21                          ; attention_bwd.py:0:21
	v_mov_b32_e32 v26, 0
	.loc	1 102 21                        ; attention_bwd.py:102:21 @[ attention_bwd.py:253:40 ]
	s_and_b64 vcc, exec, s[0:1]
	s_cbranch_vccz .LBB0_134
.LBB0_149:
	.loc	1 0 21                          ; attention_bwd.py:0:21
	v_mov_b32_e32 v27, 0
	.loc	1 103 21 is_stmt 1              ; attention_bwd.py:103:21 @[ attention_bwd.py:253:40 ]
	s_and_b64 vcc, exec, s[0:1]
	.loc	1 94 18                         ; attention_bwd.py:94:18 @[ attention_bwd.py:253:40 ]
	v_lshl_add_u64 v[18:19], v[16:17], 1, s[26:27]
	.loc	1 103 21                        ; attention_bwd.py:103:21 @[ attention_bwd.py:253:40 ]
	s_cbranch_vccz .LBB0_135
.LBB0_150:
	.loc	1 0 21 is_stmt 0                ; attention_bwd.py:0:21
	v_mov_b32_e32 v28, 0
	.loc	1 103 21                        ; attention_bwd.py:103:21 @[ attention_bwd.py:253:40 ]
	s_and_b64 vcc, exec, s[0:1]
	s_cbranch_vccz .LBB0_136
.LBB0_151:
	.loc	1 0 21                          ; attention_bwd.py:0:21
	v_mov_b32_e32 v29, 0
	.loc	1 103 21                        ; attention_bwd.py:103:21 @[ attention_bwd.py:253:40 ]
	s_and_b64 vcc, exec, s[0:1]
	s_cbranch_vccz .LBB0_137
.LBB0_152:
	.loc	1 0 21                          ; attention_bwd.py:0:21
	v_mov_b32_e32 v30, 0
	.loc	1 103 21                        ; attention_bwd.py:103:21 @[ attention_bwd.py:253:40 ]
	s_and_b64 vcc, exec, s[0:1]
	s_cbranch_vccz .LBB0_138
.LBB0_153:
	.loc	1 0 21                          ; attention_bwd.py:0:21
	v_mov_b32_e32 v31, 0
	.loc	1 103 21                        ; attention_bwd.py:103:21 @[ attention_bwd.py:253:40 ]
	s_and_b64 vcc, exec, s[0:1]
	s_cbranch_vccz .LBB0_139
.LBB0_154:
	.loc	1 0 21                          ; attention_bwd.py:0:21
	v_mov_b32_e32 v32, 0
	.loc	1 103 21                        ; attention_bwd.py:103:21 @[ attention_bwd.py:253:40 ]
	s_and_b64 vcc, exec, s[0:1]
	s_cbranch_vccz .LBB0_140
.LBB0_155:
	.loc	1 0 21                          ; attention_bwd.py:0:21
	v_mov_b32_e32 v33, 0
	.loc	1 103 21                        ; attention_bwd.py:103:21 @[ attention_bwd.py:253:40 ]
	s_and_b64 vcc, exec, s[0:1]
	s_cbranch_vccz .LBB0_141
.LBB0_156:
	.loc	1 0 21                          ; attention_bwd.py:0:21
	s_waitcnt vmcnt(3)
	v_mov_b32_e32 v34, 0
	.loc	1 103 21                        ; attention_bwd.py:103:21 @[ attention_bwd.py:253:40 ]
	s_and_b64 vcc, exec, s[0:1]
	s_cbranch_vccz .LBB0_142
.LBB0_157:
	.loc	1 0 21                          ; attention_bwd.py:0:21
	v_mov_b32_e32 v18, 0
.LBB0_158:
	.loc	1 101 25 is_stmt 1              ; attention_bwd.py:101:25 @[ attention_bwd.py:253:40 ]
	s_cmp_lt_i32 s8, 2
	.loc	1 102 21                        ; attention_bwd.py:102:21 @[ attention_bwd.py:253:40 ]
	ds_write_b16 v176, v20
	s_waitcnt vmcnt(0)
	ds_write_b16 v176, v21 offset:1024
	ds_write_b16 v176, v22 offset:2048
	;; [unrolled: 1-line block ×7, first 2 shown]
	.loc	1 103 21                        ; attention_bwd.py:103:21 @[ attention_bwd.py:253:40 ]
	s_waitcnt lgkmcnt(0)
	s_barrier
	ds_write_b16 v176, v28 offset:8192
	ds_write_b16 v176, v29 offset:9216
	;; [unrolled: 1-line block ×8, first 2 shown]
	.loc	1 101 25                        ; attention_bwd.py:101:25 @[ attention_bwd.py:253:40 ]
	s_cbranch_scc1 .LBB0_162
; %bb.159:                              ; %.lr.ph606
	v_add_u32_e32 v18, 0x70, v188
	v_or_b32_e32 v20, 0x60, v188
	v_add_u32_e32 v22, 0x50, v188
	v_or_b32_e32 v24, 64, v188
	;; [unrolled: 2-line block ×3, first 2 shown]
	v_add_u32_e32 v30, 16, v188
	v_mul_lo_u32 v18, s29, v18
	v_mul_lo_u32 v20, s29, v20
	;; [unrolled: 1-line block ×8, first 2 shown]
	s_ashr_i32 s31, s30, 31
	v_ashrrev_i32_e32 v19, 31, v18
	v_lshlrev_b64 v[16:17], 1, v[16:17]
	v_ashrrev_i32_e32 v21, 31, v20
	v_ashrrev_i32_e32 v23, 31, v22
	;; [unrolled: 1-line block ×7, first 2 shown]
	v_lshl_add_u64 v[18:19], v[18:19], 1, v[16:17]
	s_lshl_b64 s[2:3], s[30:31], 1
	v_lshl_add_u64 v[20:21], v[20:21], 1, v[16:17]
	v_lshl_add_u64 v[22:23], v[22:23], 1, v[16:17]
	;; [unrolled: 1-line block ×15, first 2 shown]
	.loc	1 113 23                        ; attention_bwd.py:113:23 @[ attention_bwd.py:253:40 ]
	v_mov_b32_e32 v79, v78
	.loc	1 101 25                        ; attention_bwd.py:101:25 @[ attention_bwd.py:253:40 ]
	v_lshl_add_u64 v[80:81], s[6:7], 0, v[18:19]
	v_lshl_add_u64 v[82:83], s[6:7], 0, v[20:21]
	;; [unrolled: 1-line block ×16, first 2 shown]
	s_add_i32 s4, s8, -1
	scratch_store_dwordx2 off, v[66:67], off offset:144 ; 8-byte Folded Spill
	scratch_store_dwordx2 off, v[64:65], off offset:128 ; 8-byte Folded Spill
.LBB0_160:                              ; =>This Inner Loop Header: Depth=1
	.loc	1 120 19                        ; attention_bwd.py:120:19 @[ attention_bwd.py:253:40 ]
	v_lshl_add_u64 v[16:17], v[110:111], 0, s[18:19]
	v_lshl_add_u64 v[18:19], v[108:109], 0, s[18:19]
	;; [unrolled: 1-line block ×7, first 2 shown]
	.loc	1 121 19                        ; attention_bwd.py:121:19 @[ attention_bwd.py:253:40 ]
	v_lshl_add_u64 v[30:31], v[96:97], 0, s[18:19]
	.loc	1 102 21                        ; attention_bwd.py:102:21 @[ attention_bwd.py:253:40 ]
	global_load_ushort v180, v[16:17], off
	global_load_ushort v181, v[18:19], off
	;; [unrolled: 1-line block ×8, first 2 shown]
	.loc	1 117 25                        ; attention_bwd.py:117:25 @[ attention_bwd.py:253:40 ]
	s_waitcnt lgkmcnt(0)
	s_barrier
	.loc	1 102 21                        ; attention_bwd.py:102:21 @[ attention_bwd.py:253:40 ]
	ds_read_b64_tr_b16 v[32:33], v145
	ds_read_b64_tr_b16 v[34:35], v144
	.loc	1 121 19                        ; attention_bwd.py:121:19 @[ attention_bwd.py:253:40 ]
	v_lshl_add_u64 v[16:17], v[94:95], 0, s[18:19]
	v_lshl_add_u64 v[18:19], v[92:93], 0, s[18:19]
	v_lshl_add_u64 v[20:21], v[90:91], 0, s[18:19]
	v_lshl_add_u64 v[22:23], v[88:89], 0, s[18:19]
	v_lshl_add_u64 v[24:25], v[86:87], 0, s[18:19]
	v_lshl_add_u64 v[26:27], v[84:85], 0, s[18:19]
	v_lshl_add_u64 v[28:29], v[82:83], 0, s[18:19]
	.loc	1 102 21                        ; attention_bwd.py:102:21 @[ attention_bwd.py:253:40 ]
	v_lshl_add_u64 v[30:31], v[80:81], 0, s[18:19]
	.loc	1 117 25                        ; attention_bwd.py:117:25 @[ attention_bwd.py:253:40 ]
	ds_read_b64 v[116:117], v140
	ds_read_b64 v[118:119], v141
	;; [unrolled: 1-line block ×4, first 2 shown]
	.loc	1 102 21                        ; attention_bwd.py:102:21 @[ attention_bwd.py:253:40 ]
	ds_read_b64_tr_b16 v[198:199], v145 offset:1024
	ds_read_b64_tr_b16 v[224:225], v145 offset:2048
	;; [unrolled: 1-line block ×14, first 2 shown]
	.loc	1 103 21                        ; attention_bwd.py:103:21 @[ attention_bwd.py:253:40 ]
	global_load_ushort v189, v[16:17], off
	global_load_ushort v182, v[18:19], off
	;; [unrolled: 1-line block ×8, first 2 shown]
	s_waitcnt lgkmcnt(0)
	s_barrier
	ds_read_b64_tr_b16 v[248:249], v145 offset:8192
	ds_read_b64_tr_b16 v[250:251], v144 offset:8192
	.loc	1 104 23                        ; attention_bwd.py:104:23 @[ attention_bwd.py:253:40 ]
	v_mfma_f32_32x32x16_f16 v[16:31], v[32:35], v[220:223], 0
	.loc	1 103 21                        ; attention_bwd.py:103:21 @[ attention_bwd.py:253:40 ]
	ds_read_b64_tr_b16 v[252:253], v145 offset:9216
	ds_read_b64_tr_b16 v[254:255], v144 offset:9216
	;; [unrolled: 1-line block ×7, first 2 shown]
	.loc	1 101 25                        ; attention_bwd.py:101:25 @[ attention_bwd.py:253:40 ]
	s_add_i32 s4, s4, -1
	v_lshl_add_u64 v[80:81], v[80:81], 0, s[2:3]
	v_lshl_add_u64 v[82:83], v[82:83], 0, s[2:3]
	;; [unrolled: 1-line block ×5, first 2 shown]
	.loc	1 112 24                        ; attention_bwd.py:112:24 @[ attention_bwd.py:253:40 ]
	s_waitcnt lgkmcnt(7)
	v_mfma_f32_32x32x16_f16 v[32:47], v[248:251], v[158:161], 0
	.loc	1 103 21                        ; attention_bwd.py:103:21 @[ attention_bwd.py:253:40 ]
	ds_read_b64_tr_b16 v[58:59], v144 offset:12288
	ds_read_b64_tr_b16 v[250:251], v144 offset:13312
	;; [unrolled: 1-line block ×7, first 2 shown]
	.loc	1 101 25                        ; attention_bwd.py:101:25 @[ attention_bwd.py:253:40 ]
	v_lshl_add_u64 v[90:91], v[90:91], 0, s[2:3]
	v_lshl_add_u64 v[92:93], v[92:93], 0, s[2:3]
	;; [unrolled: 1-line block ×6, first 2 shown]
	.loc	1 104 23                        ; attention_bwd.py:104:23 @[ attention_bwd.py:253:40 ]
	v_mfma_f32_32x32x16_f16 v[16:31], v[198:201], v[216:219], v[16:31]
	.loc	1 101 25                        ; attention_bwd.py:101:25 @[ attention_bwd.py:253:40 ]
	v_lshl_add_u64 v[102:103], v[102:103], 0, s[2:3]
	v_lshl_add_u64 v[104:105], v[104:105], 0, s[2:3]
	v_lshl_add_u64 v[106:107], v[106:107], 0, s[2:3]
	v_lshl_add_u64 v[108:109], v[108:109], 0, s[2:3]
	v_lshl_add_u64 v[110:111], v[110:111], 0, s[2:3]
	s_cmp_lg_u32 s4, 0
	.loc	1 112 24                        ; attention_bwd.py:112:24 @[ attention_bwd.py:253:40 ]
	s_waitcnt lgkmcnt(12)
	v_mfma_f32_32x32x16_f16 v[32:47], v[252:255], v[154:157], v[32:47]
	.loc	1 104 23                        ; attention_bwd.py:104:23 @[ attention_bwd.py:253:40 ]
	v_mfma_f32_32x32x16_f16 v[16:31], v[224:227], v[212:215], v[16:31]
	.loc	1 112 24                        ; attention_bwd.py:112:24 @[ attention_bwd.py:253:40 ]
	s_waitcnt lgkmcnt(9)
	v_mfma_f32_32x32x16_f16 v[32:47], v[48:51], v[166:169], v[32:47]
	.loc	1 104 23                        ; attention_bwd.py:104:23 @[ attention_bwd.py:253:40 ]
	v_mfma_f32_32x32x16_f16 v[16:31], v[228:231], v[208:211], v[16:31]
	;; [unrolled: 5-line block ×6, first 2 shown]
	.loc	1 112 24                        ; attention_bwd.py:112:24 @[ attention_bwd.py:253:40 ]
	s_waitcnt lgkmcnt(0)
	v_mfma_f32_32x32x16_f16 v[32:47], v[64:67], v[128:131], v[32:47]
	.loc	1 105 30                        ; attention_bwd.py:105:30 @[ attention_bwd.py:253:40 ]
	s_nop 9
	v_sub_f32_e32 v198, v16, v126
	v_sub_f32_e32 v199, v17, v126
	;; [unrolled: 1-line block ×7, first 2 shown]
	.loc	1 113 23                        ; attention_bwd.py:113:23 @[ attention_bwd.py:253:40 ]
	v_pk_add_f32 v[16:17], v[32:33], v[78:79] neg_lo:[0,1] neg_hi:[0,1]
	.loc	1 105 25                        ; attention_bwd.py:105:25 @[ attention_bwd.py:253:40 ]
	v_exp_f32_e32 v32, v198
	v_exp_f32_e32 v33, v199
	.loc	1 105 30 is_stmt 0              ; attention_bwd.py:105:30 @[ attention_bwd.py:253:40 ]
	v_sub_f32_e32 v225, v23, v126
	.loc	1 113 23 is_stmt 1              ; attention_bwd.py:113:23 @[ attention_bwd.py:253:40 ]
	v_pk_add_f32 v[24:25], v[40:41], v[78:79] neg_lo:[0,1] neg_hi:[0,1]
	.loc	1 105 25                        ; attention_bwd.py:105:25 @[ attention_bwd.py:253:40 ]
	v_exp_f32_e32 v40, v226
	v_exp_f32_e32 v41, v227
	.loc	1 105 30 is_stmt 0              ; attention_bwd.py:105:30 @[ attention_bwd.py:253:40 ]
	v_sub_f32_e32 v200, v18, v126
	v_sub_f32_e32 v201, v19, v126
	;; [unrolled: 1-line block ×8, first 2 shown]
	.loc	1 113 23 is_stmt 1              ; attention_bwd.py:113:23 @[ attention_bwd.py:253:40 ]
	v_pk_add_f32 v[20:21], v[36:37], v[78:79] neg_lo:[0,1] neg_hi:[0,1]
	v_pk_add_f32 v[22:23], v[38:39], v[78:79] neg_lo:[0,1] neg_hi:[0,1]
	.loc	1 105 25                        ; attention_bwd.py:105:25 @[ attention_bwd.py:253:40 ]
	v_exp_f32_e32 v36, v206
	v_exp_f32_e32 v37, v207
	;; [unrolled: 1-line block ×4, first 2 shown]
	.loc	1 113 23                        ; attention_bwd.py:113:23 @[ attention_bwd.py:253:40 ]
	v_pk_add_f32 v[18:19], v[34:35], v[78:79] neg_lo:[0,1] neg_hi:[0,1]
	v_pk_add_f32 v[26:27], v[42:43], v[78:79] neg_lo:[0,1] neg_hi:[0,1]
	;; [unrolled: 1-line block ×4, first 2 shown]
	.loc	1 105 25                        ; attention_bwd.py:105:25 @[ attention_bwd.py:253:40 ]
	v_exp_f32_e32 v34, v200
	v_exp_f32_e32 v35, v201
	;; [unrolled: 1-line block ×8, first 2 shown]
	.loc	1 113 18                        ; attention_bwd.py:113:18 @[ attention_bwd.py:253:40 ]
	v_pk_mul_f32 v[16:17], v[32:33], v[16:17]
	v_pk_mul_f32 v[24:25], v[40:41], v[24:25]
	.loc	1 114 19                        ; attention_bwd.py:114:19 @[ attention_bwd.py:253:40 ]
	v_cvt_f16_f32_e32 v16, v16
	v_cvt_f16_f32_e32 v17, v17
	.loc	1 113 18                        ; attention_bwd.py:113:18 @[ attention_bwd.py:253:40 ]
	v_pk_mul_f32 v[20:21], v[36:37], v[20:21]
	v_pk_mul_f32 v[22:23], v[38:39], v[22:23]
	.loc	1 114 19                        ; attention_bwd.py:114:19 @[ attention_bwd.py:253:40 ]
	v_cvt_f16_f32_e32 v24, v24
	.loc	1 113 18                        ; attention_bwd.py:113:18 @[ attention_bwd.py:253:40 ]
	v_pk_mul_f32 v[18:19], v[34:35], v[18:19]
	v_pk_mul_f32 v[26:27], v[42:43], v[26:27]
	;; [unrolled: 1-line block ×4, first 2 shown]
	.loc	1 114 19                        ; attention_bwd.py:114:19 @[ attention_bwd.py:253:40 ]
	v_cvt_f16_f32_e32 v25, v25
	v_cvt_f16_f32_e32 v20, v20
	v_cvt_f16_f32_e32 v21, v21
	v_cvt_f16_f32_e32 v22, v22
	v_cvt_f16_f32_e32 v23, v23
	v_cvt_f16_f32_e32 v18, v18
	v_cvt_f16_f32_e32 v19, v19
	v_cvt_f16_f32_e32 v26, v26
	v_cvt_f16_f32_e32 v27, v27
	v_cvt_f16_f32_e32 v28, v28
	v_cvt_f16_f32_e32 v29, v29
	v_cvt_f16_f32_e32 v30, v30
	v_cvt_f16_f32_e32 v31, v31
	ds_write_b16 v146, v16 offset:16384
	ds_write_b16 v146, v17 offset:16512
	;; [unrolled: 1-line block ×16, first 2 shown]
	s_waitcnt lgkmcnt(0)
	s_barrier
	ds_read_b64_tr_b16 v[20:21], v177 offset:16384
	ds_read_b64_tr_b16 v[16:17], v177 offset:18432
	;; [unrolled: 1-line block ×3, first 2 shown]
	.loc	1 117 25                        ; attention_bwd.py:117:25 @[ attention_bwd.py:253:40 ]
	s_waitcnt lgkmcnt(0)
	v_mfma_f32_32x32x16_f16 v[0:15], v[116:119], v[20:23], v[0:15]
	.loc	1 114 19                        ; attention_bwd.py:114:19 @[ attention_bwd.py:253:40 ]
	ds_read_b64_tr_b16 v[18:19], v178 offset:19456
	.loc	1 102 21                        ; attention_bwd.py:102:21 @[ attention_bwd.py:253:40 ]
	s_waitcnt vmcnt(15)
	ds_write_b16 v176, v180
	s_waitcnt vmcnt(14)
	ds_write_b16 v176, v181 offset:1024
	s_waitcnt vmcnt(13)
	ds_write_b16 v176, v120 offset:2048
	;; [unrolled: 2-line block ×7, first 2 shown]
	.loc	1 103 21                        ; attention_bwd.py:103:21 @[ attention_bwd.py:253:40 ]
	s_waitcnt vmcnt(7)
	ds_write_b16 v176, v189 offset:8192
	s_waitcnt vmcnt(6)
	ds_write_b16 v176, v182 offset:9216
	;; [unrolled: 2-line block ×8, first 2 shown]
	.loc	1 117 25                        ; attention_bwd.py:117:25 @[ attention_bwd.py:253:40 ]
	s_waitcnt lgkmcnt(14)
	v_mfma_f32_32x32x16_f16 v[0:15], v[112:115], v[16:19], v[0:15]
	.loc	1 101 25                        ; attention_bwd.py:101:25 @[ attention_bwd.py:253:40 ]
	s_cbranch_scc1 .LBB0_160
; %bb.161:                              ; %._crit_edge607.loopexit
	.loc	1 0 25 is_stmt 0                ; attention_bwd.py:0:25
	scratch_load_dwordx2 v[64:65], off, off offset:128 ; 8-byte Folded Reload
	scratch_load_dwordx2 v[66:67], off, off offset:144 ; 8-byte Folded Reload
.LBB0_162:                              ; %._crit_edge607
	.loc	1 104 23 is_stmt 1              ; attention_bwd.py:104:23 @[ attention_bwd.py:253:40 ]
	s_and_b64 vcc, exec, s[0:1]
	.loc	1 117 25                        ; attention_bwd.py:117:25 @[ attention_bwd.py:253:40 ]
	s_waitcnt lgkmcnt(0)
	s_barrier
	.loc	1 103 21                        ; attention_bwd.py:103:21 @[ attention_bwd.py:253:40 ]
	s_waitcnt lgkmcnt(0)
	s_barrier
	.loc	1 104 23                        ; attention_bwd.py:104:23 @[ attention_bwd.py:253:40 ]
	s_cbranch_vccnz .LBB0_165
; %bb.163:
	.loc	1 0 0 is_stmt 0                 ; attention_bwd.py:0 @[ attention_bwd.py:253:40 ]
	ds_read_b64_tr_b16 v[34:35], v144
	ds_read_b64_tr_b16 v[32:33], v145
	ds_read_b64_tr_b16 v[36:37], v145 offset:1024
	ds_read_b64_tr_b16 v[40:41], v145 offset:2048
	;; [unrolled: 1-line block ×6, first 2 shown]
	.loc	1 104 23                        ; attention_bwd.py:104:23 @[ attention_bwd.py:253:40 ]
	s_waitcnt lgkmcnt(6)
	v_mfma_f32_32x32x16_f16 v[16:31], v[32:35], v[220:223], 0
	.loc	1 0 0                           ; attention_bwd.py:0 @[ attention_bwd.py:253:40 ]
	ds_read_b64_tr_b16 v[34:35], v144 offset:4096
	.loc	1 104 23                        ; attention_bwd.py:104:23 @[ attention_bwd.py:253:40 ]
	s_waitcnt lgkmcnt(3)
	v_mfma_f32_32x32x16_f16 v[16:31], v[36:39], v[216:219], v[16:31]
	s_waitcnt lgkmcnt(2)
	v_mfma_f32_32x32x16_f16 v[16:31], v[40:43], v[212:215], v[16:31]
	;; [unrolled: 2-line block ×3, first 2 shown]
	.loc	1 0 0                           ; attention_bwd.py:0 @[ attention_bwd.py:253:40 ]
	ds_read_b64_tr_b16 v[32:33], v145 offset:4096
	ds_read_b64_tr_b16 v[36:37], v145 offset:5120
	;; [unrolled: 1-line block ×7, first 2 shown]
	.loc	1 104 23                        ; attention_bwd.py:104:23 @[ attention_bwd.py:253:40 ]
	s_waitcnt lgkmcnt(6)
	v_mfma_f32_32x32x16_f16 v[16:31], v[32:35], v[202:205], v[16:31]
	s_waitcnt lgkmcnt(2)
	v_mfma_f32_32x32x16_f16 v[16:31], v[36:39], v[194:197], v[16:31]
	;; [unrolled: 2-line block ×4, first 2 shown]
	.loc	1 112 24 is_stmt 1              ; attention_bwd.py:112:24 @[ attention_bwd.py:253:40 ]
	s_and_b64 vcc, exec, s[0:1]
	s_cbranch_vccnz .LBB0_166
.LBB0_164:
	.loc	1 0 24 is_stmt 0                ; attention_bwd.py:0:24
	ds_read_b64_tr_b16 v[50:51], v144 offset:8192
	ds_read_b64_tr_b16 v[48:49], v145 offset:8192
	;; [unrolled: 1-line block ×8, first 2 shown]
	.loc	1 112 24                        ; attention_bwd.py:112:24 @[ attention_bwd.py:253:40 ]
	s_waitcnt lgkmcnt(6)
	v_mfma_f32_32x32x16_f16 v[32:47], v[48:51], v[158:161], 0
	ds_read_b64_tr_b16 v[50:51], v144 offset:12288
	s_waitcnt lgkmcnt(3)
	v_mfma_f32_32x32x16_f16 v[32:47], v[52:55], v[154:157], v[32:47]
	s_waitcnt lgkmcnt(2)
	v_mfma_f32_32x32x16_f16 v[32:47], v[56:59], v[166:169], v[32:47]
	;; [unrolled: 2-line block ×3, first 2 shown]
	ds_read_b64_tr_b16 v[48:49], v145 offset:12288
	ds_read_b64_tr_b16 v[52:53], v145 offset:13312
	;; [unrolled: 1-line block ×7, first 2 shown]
	s_waitcnt lgkmcnt(6)
	v_mfma_f32_32x32x16_f16 v[32:47], v[48:51], v[150:153], v[32:47]
	s_waitcnt lgkmcnt(2)
	v_mfma_f32_32x32x16_f16 v[32:47], v[52:55], v[136:139], v[32:47]
	;; [unrolled: 2-line block ×4, first 2 shown]
	s_branch .LBB0_167
.Ltmp107:
.LBB0_165:
	.loc	1 253 40 is_stmt 1              ; attention_bwd.py:253:40
	v_mov_b32_e32 v16, 0
	v_mov_b32_e32 v17, 0
	;; [unrolled: 1-line block ×16, first 2 shown]
.Ltmp108:
	.loc	1 112 24                        ; attention_bwd.py:112:24 @[ attention_bwd.py:253:40 ]
	s_and_b64 vcc, exec, s[0:1]
	s_cbranch_vccz .LBB0_164
.LBB0_166:
	.loc	1 0 24 is_stmt 0                ; attention_bwd.py:0:24
	v_mov_b32_e32 v32, 0
	v_mov_b32_e32 v33, v32
	;; [unrolled: 1-line block ×16, first 2 shown]
.LBB0_167:
	.loc	1 105 30 is_stmt 1              ; attention_bwd.py:105:30 @[ attention_bwd.py:253:40 ]
	v_sub_f32_e32 v16, v16, v126
	v_sub_f32_e32 v17, v17, v126
	.loc	1 105 25 is_stmt 0              ; attention_bwd.py:105:25 @[ attention_bwd.py:253:40 ]
	v_exp_f32_e32 v16, v16
	v_exp_f32_e32 v17, v17
	.loc	1 105 30                        ; attention_bwd.py:105:30 @[ attention_bwd.py:253:40 ]
	v_sub_f32_e32 v24, v24, v126
	v_sub_f32_e32 v25, v25, v126
	.loc	1 105 25                        ; attention_bwd.py:105:25 @[ attention_bwd.py:253:40 ]
	v_exp_f32_e32 v24, v24
	v_exp_f32_e32 v25, v25
	.loc	1 105 30                        ; attention_bwd.py:105:30 @[ attention_bwd.py:253:40 ]
	v_sub_f32_e32 v18, v18, v126
	v_sub_f32_e32 v19, v19, v126
	.loc	1 113 23 is_stmt 1              ; attention_bwd.py:113:23 @[ attention_bwd.py:253:40 ]
	s_nop 0
	v_pk_add_f32 v[32:33], v[32:33], v[78:79] op_sel_hi:[1,0] neg_lo:[0,1] neg_hi:[0,1]
	.loc	1 105 25                        ; attention_bwd.py:105:25 @[ attention_bwd.py:253:40 ]
	v_exp_f32_e32 v18, v18
	v_exp_f32_e32 v19, v19
	.loc	1 113 18                        ; attention_bwd.py:113:18 @[ attention_bwd.py:253:40 ]
	v_pk_mul_f32 v[16:17], v[16:17], v[32:33]
	.loc	1 105 30                        ; attention_bwd.py:105:30 @[ attention_bwd.py:253:40 ]
	v_sub_f32_e32 v26, v26, v126
	v_sub_f32_e32 v27, v27, v126
	.loc	1 113 23                        ; attention_bwd.py:113:23 @[ attention_bwd.py:253:40 ]
	v_pk_add_f32 v[40:41], v[40:41], v[78:79] op_sel_hi:[1,0] neg_lo:[0,1] neg_hi:[0,1]
	.loc	1 114 19                        ; attention_bwd.py:114:19 @[ attention_bwd.py:253:40 ]
	v_cvt_f16_f32_e32 v16, v16
	.loc	1 105 25                        ; attention_bwd.py:105:25 @[ attention_bwd.py:253:40 ]
	v_exp_f32_e32 v26, v26
	v_exp_f32_e32 v27, v27
	.loc	1 113 18                        ; attention_bwd.py:113:18 @[ attention_bwd.py:253:40 ]
	v_pk_mul_f32 v[24:25], v[24:25], v[40:41]
	.loc	1 114 19                        ; attention_bwd.py:114:19 @[ attention_bwd.py:253:40 ]
	v_cvt_f16_f32_e32 v17, v17
	.loc	1 105 30                        ; attention_bwd.py:105:30 @[ attention_bwd.py:253:40 ]
	v_sub_f32_e32 v20, v20, v126
	v_sub_f32_e32 v21, v21, v126
	.loc	1 113 23                        ; attention_bwd.py:113:23 @[ attention_bwd.py:253:40 ]
	v_pk_add_f32 v[34:35], v[34:35], v[78:79] op_sel_hi:[1,0] neg_lo:[0,1] neg_hi:[0,1]
	.loc	1 114 19                        ; attention_bwd.py:114:19 @[ attention_bwd.py:253:40 ]
	v_cvt_f16_f32_e32 v24, v24
	.loc	1 105 25                        ; attention_bwd.py:105:25 @[ attention_bwd.py:253:40 ]
	v_exp_f32_e32 v20, v20
	v_exp_f32_e32 v21, v21
	.loc	1 113 18                        ; attention_bwd.py:113:18 @[ attention_bwd.py:253:40 ]
	v_pk_mul_f32 v[18:19], v[18:19], v[34:35]
	.loc	1 114 19                        ; attention_bwd.py:114:19 @[ attention_bwd.py:253:40 ]
	v_cvt_f16_f32_e32 v25, v25
	ds_read_b64 v[80:81], v140
	ds_read_b64 v[82:83], v141
	ds_read_b64 v[84:85], v142
	ds_read_b64 v[86:87], v143
	.loc	1 105 30                        ; attention_bwd.py:105:30 @[ attention_bwd.py:253:40 ]
	v_sub_f32_e32 v28, v28, v126
	v_sub_f32_e32 v29, v29, v126
	.loc	1 113 23                        ; attention_bwd.py:113:23 @[ attention_bwd.py:253:40 ]
	v_pk_add_f32 v[42:43], v[42:43], v[78:79] op_sel_hi:[1,0] neg_lo:[0,1] neg_hi:[0,1]
	.loc	1 114 19                        ; attention_bwd.py:114:19 @[ attention_bwd.py:253:40 ]
	ds_write_b16 v146, v16 offset:16384
	ds_write_b16 v146, v17 offset:16512
	;; [unrolled: 1-line block ×4, first 2 shown]
	v_cvt_f16_f32_e32 v16, v18
	.loc	1 105 25                        ; attention_bwd.py:105:25 @[ attention_bwd.py:253:40 ]
	v_exp_f32_e32 v28, v28
	v_exp_f32_e32 v29, v29
	.loc	1 113 18                        ; attention_bwd.py:113:18 @[ attention_bwd.py:253:40 ]
	v_pk_mul_f32 v[26:27], v[26:27], v[42:43]
	.loc	1 114 19                        ; attention_bwd.py:114:19 @[ attention_bwd.py:253:40 ]
	v_cvt_f16_f32_e32 v17, v19
	.loc	1 105 30                        ; attention_bwd.py:105:30 @[ attention_bwd.py:253:40 ]
	v_sub_f32_e32 v22, v22, v126
	v_sub_f32_e32 v23, v23, v126
	.loc	1 113 23                        ; attention_bwd.py:113:23 @[ attention_bwd.py:253:40 ]
	v_pk_add_f32 v[36:37], v[36:37], v[78:79] op_sel_hi:[1,0] neg_lo:[0,1] neg_hi:[0,1]
	.loc	1 114 19                        ; attention_bwd.py:114:19 @[ attention_bwd.py:253:40 ]
	v_cvt_f16_f32_e32 v18, v26
	.loc	1 105 25                        ; attention_bwd.py:105:25 @[ attention_bwd.py:253:40 ]
	v_exp_f32_e32 v22, v22
	v_exp_f32_e32 v23, v23
	.loc	1 113 18                        ; attention_bwd.py:113:18 @[ attention_bwd.py:253:40 ]
	v_pk_mul_f32 v[20:21], v[20:21], v[36:37]
	.loc	1 114 19                        ; attention_bwd.py:114:19 @[ attention_bwd.py:253:40 ]
	v_cvt_f16_f32_e32 v19, v27
	.loc	1 105 30                        ; attention_bwd.py:105:30 @[ attention_bwd.py:253:40 ]
	v_sub_f32_e32 v30, v30, v126
	v_sub_f32_e32 v31, v31, v126
	.loc	1 113 23                        ; attention_bwd.py:113:23 @[ attention_bwd.py:253:40 ]
	v_pk_add_f32 v[44:45], v[44:45], v[78:79] op_sel_hi:[1,0] neg_lo:[0,1] neg_hi:[0,1]
	.loc	1 114 19                        ; attention_bwd.py:114:19 @[ attention_bwd.py:253:40 ]
	ds_write_b16 v147, v16 offset:16640
	ds_write_b16 v147, v17 offset:16768
	;; [unrolled: 1-line block ×4, first 2 shown]
	v_cvt_f16_f32_e32 v16, v20
	.loc	1 105 25                        ; attention_bwd.py:105:25 @[ attention_bwd.py:253:40 ]
	v_exp_f32_e32 v30, v30
	v_exp_f32_e32 v31, v31
	.loc	1 113 18                        ; attention_bwd.py:113:18 @[ attention_bwd.py:253:40 ]
	v_pk_mul_f32 v[28:29], v[28:29], v[44:45]
	.loc	1 114 19                        ; attention_bwd.py:114:19 @[ attention_bwd.py:253:40 ]
	v_cvt_f16_f32_e32 v17, v21
	.loc	1 113 23                        ; attention_bwd.py:113:23 @[ attention_bwd.py:253:40 ]
	v_pk_add_f32 v[38:39], v[38:39], v[78:79] op_sel_hi:[1,0] neg_lo:[0,1] neg_hi:[0,1]
	.loc	1 114 19                        ; attention_bwd.py:114:19 @[ attention_bwd.py:253:40 ]
	v_cvt_f16_f32_e32 v18, v28
	.loc	1 113 18                        ; attention_bwd.py:113:18 @[ attention_bwd.py:253:40 ]
	v_pk_mul_f32 v[22:23], v[22:23], v[38:39]
	.loc	1 114 19                        ; attention_bwd.py:114:19 @[ attention_bwd.py:253:40 ]
	v_cvt_f16_f32_e32 v19, v29
	.loc	1 113 23                        ; attention_bwd.py:113:23 @[ attention_bwd.py:253:40 ]
	v_pk_add_f32 v[46:47], v[46:47], v[78:79] op_sel_hi:[1,0] neg_lo:[0,1] neg_hi:[0,1]
	.loc	1 114 19                        ; attention_bwd.py:114:19 @[ attention_bwd.py:253:40 ]
	ds_write_b16 v148, v16 offset:17408
	ds_write_b16 v148, v17 offset:17536
	;; [unrolled: 1-line block ×4, first 2 shown]
	v_cvt_f16_f32_e32 v16, v22
	.loc	1 113 18                        ; attention_bwd.py:113:18 @[ attention_bwd.py:253:40 ]
	v_pk_mul_f32 v[30:31], v[30:31], v[46:47]
	.loc	1 114 19                        ; attention_bwd.py:114:19 @[ attention_bwd.py:253:40 ]
	v_cvt_f16_f32_e32 v17, v23
	v_cvt_f16_f32_e32 v18, v30
	;; [unrolled: 1-line block ×3, first 2 shown]
	.loc	1 117 25                        ; attention_bwd.py:117:25 @[ attention_bwd.py:253:40 ]
	s_and_b64 vcc, exec, s[0:1]
	.loc	1 114 19                        ; attention_bwd.py:114:19 @[ attention_bwd.py:253:40 ]
	ds_write_b16 v149, v16 offset:17664
	ds_write_b16 v149, v17 offset:17792
	;; [unrolled: 1-line block ×4, first 2 shown]
	s_waitcnt lgkmcnt(0)
	s_barrier
	.loc	1 117 25                        ; attention_bwd.py:117:25 @[ attention_bwd.py:253:40 ]
	s_cbranch_vccnz .LBB0_169
; %bb.168:
	.loc	1 0 0 is_stmt 0                 ; attention_bwd.py:0 @[ attention_bwd.py:253:40 ]
	ds_read_b64_tr_b16 v[16:17], v177 offset:16384
	ds_read_b64_tr_b16 v[18:19], v178 offset:17408
	ds_read_b64_tr_b16 v[20:21], v177 offset:18432
	ds_read_b64_tr_b16 v[22:23], v178 offset:19456
	.loc	1 117 25                        ; attention_bwd.py:117:25 @[ attention_bwd.py:253:40 ]
	s_waitcnt lgkmcnt(2)
	v_mfma_f32_32x32x16_f16 v[0:15], v[80:83], v[16:19], v[0:15]
	s_waitcnt lgkmcnt(0)
	v_mfma_f32_32x32x16_f16 v[0:15], v[84:87], v[20:23], v[0:15]
.Ltmp109:
.LBB0_169:
	.loc	1 257 50 is_stmt 1              ; attention_bwd.py:257:50
	scratch_load_dwordx2 v[20:21], off, off ; 8-byte Folded Reload
	scratch_load_dwordx2 v[22:23], off, off offset:16 ; 8-byte Folded Reload
	scratch_load_dwordx2 v[24:25], off, off offset:32 ; 8-byte Folded Reload
	;; [unrolled: 1-line block ×7, first 2 shown]
	.loc	1 152 10                        ; attention_bwd.py:152:10
	s_add_u32 s0, s12, s18
	s_addc_u32 s1, s13, s19
	.loc	1 257 19                        ; attention_bwd.py:257:19
	s_waitcnt vmcnt(9)
	v_lshl_add_u64 v[16:17], v[64:65], 1, s[0:1]
	s_mov_b32 s0, 0x3f317218
	.loc	1 258 10                        ; attention_bwd.py:258:10
	v_pk_mul_f32 v[0:1], v[0:1], s[0:1] op_sel_hi:[1,0]
	v_pk_mul_f32 v[2:3], v[2:3], s[0:1] op_sel_hi:[1,0]
	;; [unrolled: 1-line block ×8, first 2 shown]
	.loc	1 259 22                        ; attention_bwd.py:259:22
	v_cvt_pk_f16_f32 v0, v0, v1
	v_cvt_pk_f16_f32 v1, v2, v3
	;; [unrolled: 1-line block ×3, first 2 shown]
	.loc	1 257 50                        ; attention_bwd.py:257:50
	s_waitcnt vmcnt(8)
	v_lshl_add_u64 v[18:19], v[66:67], 1, v[16:17]
	.loc	1 259 22                        ; attention_bwd.py:259:22
	v_cvt_pk_f16_f32 v3, v6, v7
	v_cvt_pk_f16_f32 v4, v8, v9
	;; [unrolled: 1-line block ×5, first 2 shown]
	v_permlane32_swap_b32_e32 v0, v2
	.loc	1 257 50                        ; attention_bwd.py:257:50
	v_lshl_add_u64 v[36:37], v[68:69], 1, v[16:17]
	v_lshl_add_u64 v[38:39], v[70:71], 1, v[16:17]
	;; [unrolled: 1-line block ×6, first 2 shown]
	.loc	1 259 22                        ; attention_bwd.py:259:22
	v_permlane32_swap_b32_e32 v1, v3
	v_permlane32_swap_b32_e32 v4, v6
	;; [unrolled: 1-line block ×3, first 2 shown]
	.loc	1 257 50                        ; attention_bwd.py:257:50
	s_waitcnt vmcnt(7)
	v_lshl_add_u64 v[20:21], v[20:21], 1, v[16:17]
	s_waitcnt vmcnt(6)
	v_lshl_add_u64 v[22:23], v[22:23], 1, v[16:17]
	;; [unrolled: 2-line block ×8, first 2 shown]
	v_lshl_add_u64 v[16:17], v[124:125], 1, v[16:17]
	.loc	1 259 22                        ; attention_bwd.py:259:22
	global_store_short v[18:19], v0, off
	global_store_short_d16_hi v[20:21], v0, off
	global_store_short v[22:23], v1, off
	global_store_short_d16_hi v[24:25], v1, off
	;; [unrolled: 2-line block ×8, first 2 shown]
	.loc	1 259 4 is_stmt 0               ; attention_bwd.py:259:4
	s_endpgm
.Ltmp110:
	.section	.rodata,"a",@progbits
	.p2align	6, 0x0
	.amdhsa_kernel _attn_bwd
		.amdhsa_group_segment_fixed_size 0
		.amdhsa_private_segment_fixed_size 568
		.amdhsa_kernarg_size 120
		.amdhsa_user_sgpr_count 16
		.amdhsa_user_sgpr_dispatch_ptr 0
		.amdhsa_user_sgpr_queue_ptr 0
		.amdhsa_user_sgpr_kernarg_segment_ptr 1
		.amdhsa_user_sgpr_dispatch_id 0
		.amdhsa_user_sgpr_kernarg_preload_length 14
		.amdhsa_user_sgpr_kernarg_preload_offset 0
		.amdhsa_user_sgpr_private_segment_size 0
		.amdhsa_uses_dynamic_stack 0
		.amdhsa_enable_private_segment 1
		.amdhsa_system_sgpr_workgroup_id_x 1
		.amdhsa_system_sgpr_workgroup_id_y 0
		.amdhsa_system_sgpr_workgroup_id_z 1
		.amdhsa_system_sgpr_workgroup_info 0
		.amdhsa_system_vgpr_workitem_id 0
		.amdhsa_next_free_vgpr 256
		.amdhsa_next_free_sgpr 100
		.amdhsa_accum_offset 256
		.amdhsa_reserve_vcc 1
		.amdhsa_reserve_xnack_mask 1
		.amdhsa_float_round_mode_32 0
		.amdhsa_float_round_mode_16_64 0
		.amdhsa_float_denorm_mode_32 3
		.amdhsa_float_denorm_mode_16_64 3
		.amdhsa_dx10_clamp 1
		.amdhsa_ieee_mode 1
		.amdhsa_fp16_overflow 0
		.amdhsa_tg_split 0
		.amdhsa_exception_fp_ieee_invalid_op 0
		.amdhsa_exception_fp_denorm_src 0
		.amdhsa_exception_fp_ieee_div_zero 0
		.amdhsa_exception_fp_ieee_overflow 0
		.amdhsa_exception_fp_ieee_underflow 0
		.amdhsa_exception_fp_ieee_inexact 0
		.amdhsa_exception_int_div_zero 0
	.end_amdhsa_kernel
	.text
.Lfunc_end0:
	.size	_attn_bwd, .Lfunc_end0-_attn_bwd
	.cfi_endproc
                                        ; -- End function
	.set _attn_bwd.num_vgpr, 256
	.set _attn_bwd.num_agpr, 0
	.set _attn_bwd.numbered_sgpr, 100
	.set _attn_bwd.num_named_barrier, 0
	.set _attn_bwd.private_seg_size, 568
	.set _attn_bwd.uses_vcc, 1
	.set _attn_bwd.uses_flat_scratch, 0
	.set _attn_bwd.has_dyn_sized_stack, 0
	.set _attn_bwd.has_recursion, 0
	.set _attn_bwd.has_indirect_call, 0
	.section	.AMDGPU.csdata,"",@progbits
; Kernel info:
; codeLenInByte = 23796
; TotalNumSgprs: 106
; NumVgprs: 256
; NumAgprs: 0
; TotalNumVgprs: 256
; ScratchSize: 568
; MemoryBound: 0
; FloatMode: 240
; IeeeMode: 1
; LDSByteSize: 0 bytes/workgroup (compile time only)
; SGPRBlocks: 13
; VGPRBlocks: 31
; NumSGPRsForWavesPerEU: 106
; NumVGPRsForWavesPerEU: 256
; AccumOffset: 256
; Occupancy: 2
; WaveLimiterHint : 0
; COMPUTE_PGM_RSRC2:SCRATCH_EN: 1
; COMPUTE_PGM_RSRC2:USER_SGPR: 16
; COMPUTE_PGM_RSRC2:TRAP_HANDLER: 0
; COMPUTE_PGM_RSRC2:TGID_X_EN: 1
; COMPUTE_PGM_RSRC2:TGID_Y_EN: 0
; COMPUTE_PGM_RSRC2:TGID_Z_EN: 1
; COMPUTE_PGM_RSRC2:TIDIG_COMP_CNT: 0
; COMPUTE_PGM_RSRC3_GFX90A:ACCUM_OFFSET: 63
; COMPUTE_PGM_RSRC3_GFX90A:TG_SPLIT: 0
	.text
	.p2alignl 6, 3212836864
	.fill 256, 4, 3212836864
	.section	.AMDGPU.gpr_maximums,"",@progbits
	.set amdgpu.max_num_vgpr, 0
	.set amdgpu.max_num_agpr, 0
	.set amdgpu.max_num_sgpr, 0
	.set amdgpu.max_num_named_barrier, 0
	.text
	.section	.debug_abbrev,"",@progbits
	.byte	1                               ; Abbreviation Code
	.byte	17                              ; DW_TAG_compile_unit
	.byte	1                               ; DW_CHILDREN_yes
	.byte	37                              ; DW_AT_producer
	.byte	14                              ; DW_FORM_strp
	.byte	19                              ; DW_AT_language
	.byte	5                               ; DW_FORM_data2
	.byte	3                               ; DW_AT_name
	.byte	14                              ; DW_FORM_strp
	.byte	16                              ; DW_AT_stmt_list
	.byte	23                              ; DW_FORM_sec_offset
	.byte	27                              ; DW_AT_comp_dir
	.byte	14                              ; DW_FORM_strp
	.byte	17                              ; DW_AT_low_pc
	.byte	1                               ; DW_FORM_addr
	.byte	18                              ; DW_AT_high_pc
	.byte	6                               ; DW_FORM_data4
	.byte	0                               ; EOM(1)
	.byte	0                               ; EOM(2)
	.byte	2                               ; Abbreviation Code
	.byte	46                              ; DW_TAG_subprogram
	.byte	0                               ; DW_CHILDREN_no
	.byte	3                               ; DW_AT_name
	.byte	14                              ; DW_FORM_strp
	.byte	32                              ; DW_AT_inline
	.byte	11                              ; DW_FORM_data1
	.byte	0                               ; EOM(1)
	.byte	0                               ; EOM(2)
	.byte	3                               ; Abbreviation Code
	.byte	46                              ; DW_TAG_subprogram
	.byte	1                               ; DW_CHILDREN_yes
	.byte	17                              ; DW_AT_low_pc
	.byte	1                               ; DW_FORM_addr
	.byte	18                              ; DW_AT_high_pc
	.byte	6                               ; DW_FORM_data4
	.byte	49                              ; DW_AT_abstract_origin
	.byte	19                              ; DW_FORM_ref4
	.byte	0                               ; EOM(1)
	.byte	0                               ; EOM(2)
	.byte	4                               ; Abbreviation Code
	.byte	29                              ; DW_TAG_inlined_subroutine
	.byte	0                               ; DW_CHILDREN_no
	.byte	49                              ; DW_AT_abstract_origin
	.byte	19                              ; DW_FORM_ref4
	.byte	85                              ; DW_AT_ranges
	.byte	23                              ; DW_FORM_sec_offset
	.byte	88                              ; DW_AT_call_file
	.byte	11                              ; DW_FORM_data1
	.byte	89                              ; DW_AT_call_line
	.byte	11                              ; DW_FORM_data1
	.byte	87                              ; DW_AT_call_column
	.byte	11                              ; DW_FORM_data1
	.byte	0                               ; EOM(1)
	.byte	0                               ; EOM(2)
	;; [unrolled: 1-line block ×3, first 2 shown]
	.section	.debug_info,"",@progbits
.Lcu_begin0:
	.long	.Ldebug_info_end0-.Ldebug_info_start0 ; Length of Unit
.Ldebug_info_start0:
	.short	4                               ; DWARF version number
	.long	.debug_abbrev                   ; Offset Into Abbrev. Section
	.byte	8                               ; Address Size (in bytes)
	.byte	1                               ; Abbrev [1] 0xb:0x68 DW_TAG_compile_unit
	.long	.Linfo_string0                  ; DW_AT_producer
	.short	2                               ; DW_AT_language
	.long	.Linfo_string1                  ; DW_AT_name
	.long	.Lline_table_start0             ; DW_AT_stmt_list
	.long	.Linfo_string2                  ; DW_AT_comp_dir
	.quad	.Lfunc_begin0                   ; DW_AT_low_pc
	.long	.Lfunc_end0-.Lfunc_begin0       ; DW_AT_high_pc
	.byte	2                               ; Abbrev [2] 0x2a:0x6 DW_TAG_subprogram
	.long	.Linfo_string3                  ; DW_AT_name
	.byte	1                               ; DW_AT_inline
	.byte	3                               ; Abbrev [3] 0x30:0x42 DW_TAG_subprogram
	.quad	.Lfunc_begin0                   ; DW_AT_low_pc
	.long	.Lfunc_end0-.Lfunc_begin0       ; DW_AT_high_pc
	.long	42                              ; DW_AT_abstract_origin
	.byte	4                               ; Abbrev [4] 0x41:0xc DW_TAG_inlined_subroutine
	.long	42                              ; DW_AT_abstract_origin
	.long	.Ldebug_ranges0                 ; DW_AT_ranges
	.byte	1                               ; DW_AT_call_file
	.byte	253                             ; DW_AT_call_line
	.byte	40                              ; DW_AT_call_column
	.byte	4                               ; Abbrev [4] 0x4d:0xc DW_TAG_inlined_subroutine
	.long	42                              ; DW_AT_abstract_origin
	.long	.Ldebug_ranges1                 ; DW_AT_ranges
	.byte	1                               ; DW_AT_call_file
	.byte	184                             ; DW_AT_call_line
	.byte	50                              ; DW_AT_call_column
	;; [unrolled: 6-line block ×4, first 2 shown]
	.byte	0                               ; End Of Children Mark
	.byte	0                               ; End Of Children Mark
.Ldebug_info_end0:
	.section	.debug_ranges,"",@progbits
.Ldebug_ranges0:
	.quad	.Ltmp2-.Lfunc_begin0
	.quad	.Ltmp3-.Lfunc_begin0
	;; [unrolled: 1-line block ×12, first 2 shown]
	.quad	0
	.quad	0
.Ldebug_ranges1:
	.quad	.Ltmp4-.Lfunc_begin0
	.quad	.Ltmp5-.Lfunc_begin0
	;; [unrolled: 1-line block ×76, first 2 shown]
	.quad	0
	.quad	0
.Ldebug_ranges2:
	.quad	.Ltmp59-.Lfunc_begin0
	.quad	.Ltmp60-.Lfunc_begin0
	.quad	.Ltmp62-.Lfunc_begin0
	.quad	.Ltmp63-.Lfunc_begin0
	.quad	.Ltmp64-.Lfunc_begin0
	.quad	.Ltmp65-.Lfunc_begin0
	.quad	.Ltmp66-.Lfunc_begin0
	.quad	.Ltmp67-.Lfunc_begin0
	.quad	.Ltmp69-.Lfunc_begin0
	.quad	.Ltmp70-.Lfunc_begin0
	.quad	.Ltmp72-.Lfunc_begin0
	.quad	.Ltmp73-.Lfunc_begin0
	.quad	.Ltmp75-.Lfunc_begin0
	.quad	.Ltmp76-.Lfunc_begin0
	.quad	.Ltmp78-.Lfunc_begin0
	.quad	.Ltmp79-.Lfunc_begin0
	.quad	.Ltmp81-.Lfunc_begin0
	.quad	.Ltmp82-.Lfunc_begin0
	.quad	.Ltmp84-.Lfunc_begin0
	.quad	.Ltmp85-.Lfunc_begin0
	.quad	.Ltmp87-.Lfunc_begin0
	.quad	.Ltmp88-.Lfunc_begin0
	.quad	.Ltmp89-.Lfunc_begin0
	.quad	.Ltmp90-.Lfunc_begin0
	.quad	.Ltmp91-.Lfunc_begin0
	.quad	.Ltmp92-.Lfunc_begin0
	.quad	0
	.quad	0
.Ldebug_ranges3:
	.quad	.Ltmp93-.Lfunc_begin0
	.quad	.Ltmp94-.Lfunc_begin0
	;; [unrolled: 1-line block ×14, first 2 shown]
	.quad	0
	.quad	0
	.section	.debug_str,"MS",@progbits,1
.Linfo_string0:
	.asciz	"triton"                        ; string offset=0
.Linfo_string1:
	.asciz	"attention_bwd.py"              ; string offset=7
.Linfo_string2:
	.asciz	"/root/src/amdgpu-assembly/repos/triton-lang__triton-aot" ; string offset=24
.Linfo_string3:
	.asciz	"_attn_bwd"                     ; string offset=80
	.section	".note.GNU-stack","",@progbits
	.amdgpu_metadata
---
amdhsa.kernels:
  - .agpr_count:     0
    .args:
      - .address_space:  global
        .offset:         0
        .size:           8
        .value_kind:     global_buffer
      - .address_space:  global
        .offset:         8
        .size:           8
        .value_kind:     global_buffer
      - .address_space:  global
        .offset:         16
        .size:           8
        .value_kind:     global_buffer
      - .offset:         24
        .size:           4
        .value_kind:     by_value
      - .address_space:  global
        .offset:         32
        .size:           8
        .value_kind:     global_buffer
      - .address_space:  global
        .offset:         40
        .size:           8
        .value_kind:     global_buffer
      - .address_space:  global
        .offset:         48
        .size:           8
        .value_kind:     global_buffer
      - .address_space:  global
        .offset:         56
        .size:           8
        .value_kind:     global_buffer
      - .address_space:  global
        .offset:         64
        .size:           8
        .value_kind:     global_buffer
      - .address_space:  global
        .offset:         72
        .size:           8
        .value_kind:     global_buffer
      - .offset:         80
        .size:           4
        .value_kind:     by_value
      - .offset:         84
        .size:           4
        .value_kind:     by_value
      - .offset:         88
        .size:           4
        .value_kind:     by_value
      - .offset:         92
        .size:           4
        .value_kind:     by_value
      - .offset:         96
        .size:           4
        .value_kind:     by_value
      - .offset:         100
        .size:           4
        .value_kind:     by_value
      - .address_space:  global
        .offset:         104
        .size:           8
        .value_kind:     global_buffer
      - .address_space:  global
        .offset:         112
        .size:           8
        .value_kind:     global_buffer
    .group_segment_fixed_size: 0
    .kernarg_segment_align: 8
    .kernarg_segment_size: 120
    .max_flat_workgroup_size: 512
    .name:           _attn_bwd
    .private_segment_fixed_size: 568
    .sgpr_count:     106
    .sgpr_spill_count: 0
    .symbol:         _attn_bwd.kd
    .uniform_work_group_size: 1
    .uses_dynamic_stack: false
    .vgpr_count:     256
    .vgpr_spill_count: 161
    .wavefront_size: 64
amdhsa.target:   amdgcn-amd-amdhsa--gfx950
amdhsa.version:
  - 1
  - 2
...

	.end_amdgpu_metadata
	.section	.debug_line,"",@progbits
.Lline_table_start0:
